;; amdgpu-corpus repo=ROCm/aiter kind=harvested arch=n/a opt=n/a

/root/src/amdgpu-assembly/repos/ROCm__aiter/hsa/gfx950/mla/mla_a8w8_qh16_qseqlen1_gqaratio16_lse_ps.co:	file format elf64-amdgpu

Disassembly of section .text:

0000000000002400 <_ZN5aiter40mla_a8w8_qh16_qseqlen1_gqaratio16_lse_psE>:
	s_and_b32 s1, s1, 0xffff                                   // 000000002400: 8601FF01 0000FFFF
	s_load_dwordx2 s[28:29], s[0:1], 0xe0                      // 000000002408: C0060700 000000E0
	v_lshrrev_b32_e32 v1, 10, v0                               // 000000002410: 2002008A
	v_lshrrev_b32_e32 v2, 10, v1                               // 000000002414: 2004028A
	v_and_b32_e32 v2, 0x3ff, v2                                // 000000002418: 260404FF 000003FF
	v_and_b32_e32 v1, 0x3ff, v1                                // 000000002420: 260202FF 000003FF
	v_and_b32_e32 v0, 0x3ff, v0                                // 000000002428: 260000FF 000003FF
	v_lshrrev_b32_e32 v3, 6, v0                                // 000000002430: 20060086
	v_and_b32_e32 v0, 63, v0                                   // 000000002434: 260000BF
	s_mov_b32 s2, s2                                           // 000000002438: BE820002
	s_mov_b32 s3, s3                                           // 00000000243C: BE830003
	s_mov_b32 s4, s4                                           // 000000002440: BE840004
	v_readfirstlane_b32 s7, v3                                 // 000000002444: 7E0E0503
	s_waitcnt lgkmcnt(0)                                       // 000000002448: BF8CC07F
	s_and_b32 s29, s29, 0xffff                                 // 00000000244C: 861DFF1D 0000FFFF
	s_load_dwordx2 s[32:33], s[28:29], 0x0                     // 000000002454: C006080E 00000000
	s_load_dwordx2 s[30:31], s[28:29], 0x8                     // 00000000245C: C006078E 00000008
	s_waitcnt lgkmcnt(0)                                       // 000000002464: BF8CC07F
	s_mul_i32 s60, s2, 4                                       // 000000002468: 923C8402
	s_and_b32 s33, s33, 0xffff                                 // 00000000246C: 8621FF21 0000FFFF
	s_add_u32 s32, s60, s32                                    // 000000002474: 8020203C
	s_addc_u32 s33, 0, s33                                     // 000000002478: 82212180
	s_load_dword s89, s[32:33], 0x0                            // 00000000247C: C0021650 00000000
	s_load_dword s90, s[32:33], 0x4                            // 000000002484: C0021690 00000004
	s_and_b32 s31, s31, 0xffff                                 // 00000000248C: 861FFF1F 0000FFFF
	s_waitcnt lgkmcnt(0)                                       // 000000002494: BF8CC07F
	s_cmp_eq_i32 s89, s90                                      // 000000002498: BF005A59
	s_cbranch_scc1 label_3544                                  // 00000000249C: BF850D07
	s_mul_i32 s60, s89, 32                                     // 0000000024A0: 923CA059

00000000000024a4 <label_00A4>:
	s_waitcnt vmcnt(0) expcnt(0) lgkmcnt(0)                    // 0000000024A4: BF8C0000
	s_barrier                                                  // 0000000024A8: BF8A0000
	s_add_u32 s30, s60, s30                                    // 0000000024AC: 801E1E3C
	s_addc_u32 s31, 0, s31                                     // 0000000024B0: 821F1F80
	s_load_dword s91, s[30:31], 0x4                            // 0000000024B4: C00216CF 00000004
	s_load_dword s82, s[30:31], 0x8                            // 0000000024BC: C002148F 00000008
	s_load_dword s83, s[30:31], 0xc                            // 0000000024C4: C00214CF 0000000C
	s_load_dword s47, s[30:31], 0x10                           // 0000000024CC: C0020BCF 00000010
	s_load_dword s46, s[30:31], 0x14                           // 0000000024D4: C0020B8F 00000014
	s_load_dword s81, s[30:31], 0x18                           // 0000000024DC: C002144F 00000018
	s_load_dwordx2 s[8:9], s[0:1], 0x0                         // 0000000024E4: C0060200 00000000
	s_load_dwordx2 s[12:13], s[0:1], 0x10                      // 0000000024EC: C0060300 00000010
	s_load_dwordx2 s[16:17], s[0:1], 0x20                      // 0000000024F4: C0060400 00000020
	s_load_dwordx2 s[20:21], s[0:1], 0x30                      // 0000000024FC: C0060500 00000030
	s_load_dwordx2 s[24:25], s[0:1], 0x50                      // 000000002504: C0060600 00000050
	s_load_dword s68, s[0:1], 0x70                             // 00000000250C: C0021100 00000070
	s_load_dword s69, s[0:1], 0x80                             // 000000002514: C0021140 00000080
	s_load_dword s71, s[0:1], 0x90                             // 00000000251C: C00211C0 00000090
	s_load_dword s70, s[0:1], 0xa0                             // 000000002524: C0021180 000000A0
	s_load_dword s72, s[0:1], 0xb0                             // 00000000252C: C0021200 000000B0
	s_load_dword s73, s[0:1], 0xc0                             // 000000002534: C0021240 000000C0
	s_load_dwordx2 s[92:93], s[0:1], 0xf0                      // 00000000253C: C0061700 000000F0
	s_load_dwordx2 s[96:97], s[0:1], 0x130                     // 000000002544: C0061800 00000130
	s_load_dwordx2 s[40:41], s[0:1], 0x100                     // 00000000254C: C0060A00 00000100
	s_load_dwordx2 s[42:43], s[0:1], 0x110                     // 000000002554: C0060A80 00000110
	s_waitcnt lgkmcnt(0)                                       // 00000000255C: BF8CC07F
	s_min_u32 s80, 16, s69                                     // 000000002560: 83D04590
	s_sub_u32 s85, s83, s82                                    // 000000002564: 80D55253
	s_mul_i32 s78, 0x240, s69                                  // 000000002568: 924E45FF 00000240
	s_mul_i32 s60, 4, s69                                      // 000000002570: 923C4584
	s_mov_b32 s10, s79                                         // 000000002574: BE8A004F
	s_mov_b32 s18, s78                                         // 000000002578: BE92004E
	s_mov_b32 s14, s60                                         // 00000000257C: BE8E003C
	s_mov_b32 s98, s60                                         // 000000002580: BEE2003C
	s_mov_b32 s22, -16                                         // 000000002584: BE9600D0
	s_mov_b32 s26, -16                                         // 000000002588: BE9A00D0
	s_mov_b32 s11, 0x20000                                     // 00000000258C: BE8B00FF 00020000
	s_mov_b32 s95, 0x20000                                     // 000000002594: BEDF00FF 00020000
	s_mov_b32 s19, 0x20000                                     // 00000000259C: BE9300FF 00020000
	s_mov_b32 s15, 0x20000                                     // 0000000025A4: BE8F00FF 00020000
	s_mov_b32 s99, 0x20000                                     // 0000000025AC: BEE300FF 00020000
	s_mov_b32 s23, 0x20000                                     // 0000000025B4: BE9700FF 00020000
	s_mov_b32 s27, 0x20000                                     // 0000000025BC: BE9B00FF 00020000
	s_and_b32 s9, s9, 0xffff                                   // 0000000025C4: 8609FF09 0000FFFF
	s_and_b32 s93, s93, 0xffff                                 // 0000000025CC: 865DFF5D 0000FFFF
	s_and_b32 s17, s17, 0xffff                                 // 0000000025D4: 8611FF11 0000FFFF
	s_and_b32 s13, s13, 0xffff                                 // 0000000025DC: 860DFF0D 0000FFFF
	s_and_b32 s97, s97, 0xffff                                 // 0000000025E4: 8661FF61 0000FFFF
	s_and_b32 s21, s21, 0xffff                                 // 0000000025EC: 8615FF15 0000FFFF
	s_and_b32 s25, s25, 0xffff                                 // 0000000025F4: 8619FF19 0000FFFF
	s_and_b32 s41, s41, 0xffff                                 // 0000000025FC: 8629FF29 0000FFFF
	s_and_b32 s43, s43, 0xffff                                 // 000000002604: 862BFF2B 0000FFFF
	s_or_b32 s9, s9, 0x40000                                   // 00000000260C: 8709FF09 00040000
	s_or_b32 s93, s93, 0x40000                                 // 000000002614: 875DFF5D 00040000
	s_or_b32 s17, s17, 0x40000                                 // 00000000261C: 8711FF11 00040000
	s_or_b32 s13, s13, 0x40000                                 // 000000002624: 870DFF0D 00040000
	s_or_b32 s97, s97, 0x40000                                 // 00000000262C: 8761FF61 00040000
	s_or_b32 s21, s21, 0x40000                                 // 000000002634: 8715FF15 00040000
	s_or_b32 s25, s25, 0x40000                                 // 00000000263C: 8719FF19 00040000
	s_mov_b32 s85, 1                                           // 000000002644: BED50081
	s_mov_b32 s71, 1                                           // 000000002648: BEC70081
	s_mov_b32 s84, 0                                           // 00000000264C: BED40080
	s_waitcnt lgkmcnt(0)                                       // 000000002650: BF8CC07F
	s_load_dword s64, s[40:41], 0x0                            // 000000002654: C0021014 00000000
	s_load_dword s65, s[42:43], 0x0                            // 00000000265C: C0021055 00000000
	s_mov_b32 s73, 0                                           // 000000002664: BEC90080
	s_lshr_b32 s44, 0x80, s73                                  // 000000002668: 8F2C49FF 00000080
	s_mul_i32 s77, s44, 4                                      // 000000002670: 924D842C
	s_mul_i32 s77, s77, s71                                    // 000000002674: 924D474D
	s_mul_i32 s45, s4, s44                                     // 000000002678: 922D2C04
	s_sub_u32 s50, s46, s47                                    // 00000000267C: 80B22F2E
	s_cmp_le_u32 s50, s45                                      // 000000002680: BF0B2D32
	s_cbranch_scc1 label_3544                                  // 000000002684: BF850C8D
	s_mul_i32 s60, s50, 4                                      // 000000002688: 923C8432
	s_mov_b32 s26, s60                                         // 00000000268C: BE9A003C
	s_mul_i32 s60, s47, 4                                      // 000000002690: 923C842F
	s_add_u32 s24, s60, s24                                    // 000000002694: 8018183C
	s_addc_u32 s25, 0, s25                                     // 000000002698: 82191980
	s_mov_b32 s74, 0                                           // 00000000269C: BECA0080
	s_sub_u32 s75, s50, s45                                    // 0000000026A0: 80CB2D32
	s_mul_i32 s37, s71, s44                                    // 0000000026A4: 92252C47
	s_mov_b32 s36, s75                                         // 0000000026A8: BEA4004B
	v_cvt_f32_u32_e32 v28, s37                                 // 0000000026AC: 7E380C25
	s_sub_i32 s60, 0, s37                                      // 0000000026B0: 81BC2580
	v_rcp_iflag_f32_e32 v28, v28                               // 0000000026B4: 7E38471C
	s_nop 0                                                    // 0000000026B8: BF800000
	v_mul_f32_e32 v28, 0x4f7ffffe, v28                         // 0000000026BC: 0A3838FF 4F7FFFFE
	v_cvt_u32_f32_e32 v28, v28                                 // 0000000026C4: 7E380F1C
	v_mul_lo_u32 v29, s60, v28                                 // 0000000026C8: D285001D 0002383C
	v_mul_hi_u32 v29, v28, v29                                 // 0000000026D0: D286001D 00023B1C
	v_add_u32_e32 v28, v28, v29                                // 0000000026D8: 68383B1C
	v_mul_hi_u32 v28, s36, v28                                 // 0000000026DC: D286001C 00023824
	v_mul_lo_u32 v29, v28, s37                                 // 0000000026E4: D285001D 00004B1C
	v_sub_u32_e32 v31, s36, v29                                // 0000000026EC: 6A3E3A24
	v_add_u32_e32 v30, 1, v28                                  // 0000000026F0: 683C3881
	v_cmp_le_u32_e32 vcc, s37, v31                             // 0000000026F4: 7D963E25
	v_subrev_u32_e32 v29, s37, v31                             // 0000000026F8: 6C3A3E25
	s_nop 0                                                    // 0000000026FC: BF800000
	v_cndmask_b32_e32 v28, v28, v30, vcc                       // 000000002700: 00383D1C
	v_cndmask_b32_e32 v31, v31, v29, vcc                       // 000000002704: 003E3B1F
	v_add_u32_e32 v29, 1, v28                                  // 000000002708: 683A3881
	v_cmp_le_u32_e32 vcc, s37, v31                             // 00000000270C: 7D963E25
	s_nop 1                                                    // 000000002710: BF800001
	v_cndmask_b32_e32 v31, v28, v29, vcc                       // 000000002714: 003E3B1C
	s_nop 3                                                    // 000000002718: BF800003
	v_readfirstlane_b32 s38, v31                               // 00000000271C: 7E4C051F
	s_nop 3                                                    // 000000002720: BF800003
	s_mov_b32 s75, s38                                         // 000000002724: BECB0026
	s_mul_i32 s60, s75, s37                                    // 000000002728: 923C254B
	s_sub_u32 s60, s36, s60                                    // 00000000272C: 80BC3C24
	s_mov_b32 s61, 0                                           // 000000002730: BEBD0080
	s_cmp_lt_u32 s60, s44                                      // 000000002734: BF0A2C3C
	s_cselect_b32 s61, s61, 1                                  // 000000002738: 853D813D
	s_add_u32 s75, s61, s75                                    // 00000000273C: 804B4B3D
	s_cmpk_eq_u32 s61, 0x1                                     // 000000002740: B43D0001
	s_cselect_b32 s49, 0, s60                                  // 000000002744: 85313C80
	s_mov_b32 s48, s49                                         // 000000002748: BEB00031
	v_lshrrev_b32_e32 v28, 2, v0                               // 00000000274C: 20380082
	s_mul_i32 s60, s7, 32                                      // 000000002750: 923CA007
	v_add_u32_e64 v26, v28, s60                                // 000000002754: D134001A 0000791C
	s_mov_b32 s60, 16                                          // 00000000275C: BEBC0090
	v_add_u32_e32 v27, s60, v26                                // 000000002760: 6836343C
	v_lshlrev_b32_e32 v26, 2, v26                              // 000000002764: 24343482
	v_lshlrev_b32_e32 v27, 2, v27                              // 000000002768: 24363682
	buffer_load_dword v22, v26, s[24:27], 0 offen              // 00000000276C: E0501000 8006161A
	buffer_load_dword v23, v27, s[24:27], 0 offen              // 000000002774: E0501000 8006171B
	v_add_u32_e32 v26, s77, v26                                // 00000000277C: 6834344D
	v_add_u32_e32 v27, s77, v27                                // 000000002780: 6836364D
	buffer_load_dword v24, v26, s[24:27], 0 offen              // 000000002784: E0501000 8006181A
	buffer_load_dword v25, v27, s[24:27], 0 offen              // 00000000278C: E0501000 8006191B
	v_add_u32_e32 v26, s77, v26                                // 000000002794: 6834344D
	v_add_u32_e32 v27, s77, v27                                // 000000002798: 6836364D
	s_mul_i32 s60, 0x240, 16                                   // 00000000279C: 923C90FF 00000240
	s_mul_i32 s60, s82, s60                                    // 0000000027A4: 923C3C52
	s_add_u32 s16, s60, s16                                    // 0000000027A8: 8010103C
	s_addc_u32 s17, 0, s17                                     // 0000000027AC: 82111180
	s_mul_i32 s60, s7, 0x400                                   // 0000000027B0: 923CFF07 00000400
	s_add_u32 m0, 0, s60                                       // 0000000027B8: 807C3C80
	v_and_b32_e32 v28, 3, v0                                   // 0000000027BC: 26380083
	v_mov_b32_e32 v29, 0                                       // 0000000027C0: 7E3A0280
	s_mov_b32 s60, 0                                           // 0000000027C4: BEBC0080
	s_mov_b32 s61, -1                                          // 0000000027C8: BEBD00C1
	v_cndmask_b32_e64 v30, v29, v28, s[60:61]                  // 0000000027CC: D100001E 00F2391D
	s_nop 2                                                    // 0000000027D4: BF800002
	v_mov_b32_dpp v30, v30 quad_perm:[2,3,0,1] row_mask:0xf bank_mask:0xf// 0000000027D8: 7E3C02FA FF004E1E
	v_cndmask_b32_e64 v31, v28, v30, s[60:61]                  // 0000000027E0: D100001F 00F23D1C
	v_lshlrev_b32_e32 v31, 4, v31                              // 0000000027E8: 243E3E84
	v_mov_b32_e32 v1, v31                                      // 0000000027EC: 7E02031F
	v_lshrrev_b32_e32 v28, 2, v0                               // 0000000027F0: 20380082
	s_mov_b32 s60, 0x240                                       // 0000000027F4: BEBC00FF 00000240
	v_mul_i32_i24_e64 v28, v28, s60                            // 0000000027FC: D106001C 0000791C
	s_mul_i32 s60, s7, 64                                      // 000000002804: 923CC007
	v_add_u32_e32 v29, v28, v31                                // 000000002808: 683A3F1C
	v_add_u32_e64 v29, v29, s60                                // 00000000280C: D134001D 0000791D
	buffer_load_dwordx4 v29, s[16:19], 0 offen lds             // 000000002814: E05D1000 8004001D
	s_add_u32 m0, m0, 0x1000                                   // 00000000281C: 807CFF7C 00001000
	v_add_u32_e32 v29, 0x100, v29                              // 000000002824: 683A3AFF 00000100
	buffer_load_dwordx4 v29, s[16:19], 0 offen lds             // 00000000282C: E05D1000 8004001D
	s_add_u32 m0, m0, 0x1000                                   // 000000002834: 807CFF7C 00001000
	v_add_u32_e32 v29, 0x100, v29                              // 00000000283C: 683A3AFF 00000100
	buffer_load_dwordx4 v29, s[16:19], 0 offen lds             // 000000002844: E05D1000 8004001D
	s_add_u32 m0, m0, 0x1000                                   // 00000000284C: 807CFF7C 00001000
	v_add_u32_e32 v29, 0x100, v29                              // 000000002854: 683A3AFF 00000100
	s_mov_b32 s52, 0x7060302                                   // 00000000285C: BEB400FF 07060302
	s_mov_b32 s53, 0x7060302                                   // 000000002864: BEB500FF 07060302
	s_mov_b32 s54, 0x5040100                                   // 00000000286C: BEB600FF 05040100
	v_mov_b32_e32 v71, 0xffff0000                              // 000000002874: 7E8E02FF FFFF0000
	v_mov_b32_e32 v72, 0x7fff0000                              // 00000000287C: 7E9002FF 7FFF0000
	v_mov_b32_e32 v73, 0x7fff                                  // 000000002884: 7E9202FF 00007FFF
	s_mul_i32 s51, s7, 4                                       // 00000000288C: 92338407
	s_mov_b32 s6, 0x3fb8aa3b                                   // 000000002890: BE8600FF 3FB8AA3B
	v_mov_b32_e32 v29, s6                                      // 000000002898: 7E3A0206
	v_mov_b32_e32 v28, s68                                     // 00000000289C: 7E380244
	v_mul_f32_e32 v28, s6, v28                                 // 0000000028A0: 0A383806
	v_rcp_f32_e32 v29, v29                                     // 0000000028A4: 7E3A451D
	v_mov_b32_e32 v2, 0xff800000                               // 0000000028A8: 7E0402FF FF800000
	v_mov_b32_e32 v18, 0                                       // 0000000028B0: 7E240280
	v_mov_b32_e32 v4, 0                                        // 0000000028B4: 7E080280
	v_readfirstlane_b32 s100, v28                              // 0000000028B8: 7EC8051C
	v_readfirstlane_b32 s67, v29                               // 0000000028BC: 7E86051D
	s_waitcnt lgkmcnt(0)                                       // 0000000028C0: BF8CC07F
	v_mov_b32_e32 v28, s64                                     // 0000000028C4: 7E380240
	v_mul_f32_e32 v28, s65, v28                                // 0000000028C8: 0A383841
	v_mul_f32_e32 v29, s100, v28                               // 0000000028CC: 0A3A3864
	v_mul_f32_e32 v31, s68, v28                                // 0000000028D0: 0A3E3844
	v_readfirstlane_b32 s100, v29                              // 0000000028D4: 7EC8051D
	v_readfirstlane_b32 s68, v31                               // 0000000028D8: 7E88051F
	v_accvgpr_write_b32 a36, 0                                 // 0000000028DC: D3D94024 18000080
	v_accvgpr_write_b32 a37, 0                                 // 0000000028E4: D3D94025 18000080
	v_accvgpr_write_b32 a38, 0                                 // 0000000028EC: D3D94026 18000080
	v_accvgpr_write_b32 a39, 0                                 // 0000000028F4: D3D94027 18000080
	v_accvgpr_write_b32 a76, 0                                 // 0000000028FC: D3D9404C 18000080
	v_accvgpr_write_b32 a77, 0                                 // 000000002904: D3D9404D 18000080
	v_accvgpr_write_b32 a78, 0                                 // 00000000290C: D3D9404E 18000080
	v_accvgpr_write_b32 a79, 0                                 // 000000002914: D3D9404F 18000080
	v_accvgpr_write_b32 a116, 0                                // 00000000291C: D3D94074 18000080
	v_accvgpr_write_b32 a117, 0                                // 000000002924: D3D94075 18000080
	v_accvgpr_write_b32 a118, 0                                // 00000000292C: D3D94076 18000080
	v_accvgpr_write_b32 a119, 0                                // 000000002934: D3D94077 18000080
	s_mov_b32 s56, 0x4000                                      // 00000000293C: BEB800FF 00004000
	s_mov_b32 s57, 0x6400                                      // 000000002944: BEB900FF 00006400
	s_mov_b32 s58, 0x16000                                     // 00000000294C: BEBA00FF 00016000
	s_mov_b32 s59, 0x18400                                     // 000000002954: BEBB00FF 00018400
	s_mul_i32 s61, s7, 0x4800                                  // 00000000295C: 923DFF07 00004800
	s_add_u32 s56, s61, s56                                    // 000000002964: 8038383D
	s_add_u32 s57, s61, s57                                    // 000000002968: 8039393D
	s_add_u32 s58, s61, s58                                    // 00000000296C: 803A3A3D
	s_add_u32 s59, s61, s59                                    // 000000002970: 803B3B3D
	v_lshlrev_b32_e32 v34, 3, v0                               // 000000002974: 24440083
	s_mov_b32 s60, 0x200                                       // 000000002978: BEBC00FF 00000200
	s_mul_i32 s60, s60, s7                                     // 000000002980: 923C073C
	v_add_u32_e32 v34, s60, v34                                // 000000002984: 6844443C
	v_and_b32_e32 v28, 31, v0                                  // 000000002988: 2638009F
	v_lshlrev_b32_e32 v35, 3, v28                              // 00000000298C: 24463883
	v_lshrrev_b32_e32 v28, 5, v0                               // 000000002990: 20380085
	s_mov_b32 s60, 0x200                                       // 000000002994: BEBC00FF 00000200
	v_mul_i32_i24_e32 v28, s60, v28                            // 00000000299C: 0C38383C
	v_add_u32_e32 v35, v28, v35                                // 0000000029A0: 6846471C
	v_lshlrev_b32_e32 v36, 2, v0                               // 0000000029A4: 24480082
	s_mul_i32 s60, 0x100, s7                                   // 0000000029A8: 923C07FF 00000100
	v_add_u32_e32 v36, s60, v36                                // 0000000029B0: 6848483C
	v_lshlrev_b32_e32 v37, 2, v0                               // 0000000029B4: 244A0082
	s_waitcnt vmcnt(3)                                         // 0000000029B8: BF8C0F73
	v_mul_u32_u24_e64 v32, v22, s72                            // 0000000029BC: D1080020 00009116
	v_mul_u32_u24_e64 v33, v23, s72                            // 0000000029C4: D1080021 00009117
	v_add_u32_e32 v32, v32, v1                                 // 0000000029CC: 68400320
	v_add_u32_e32 v33, v33, v1                                 // 0000000029D0: 68420321
	s_mov_b32 m0, s58                                          // 0000000029D4: BEFC003A
	buffer_load_dwordx4 v32, s[20:23], 0 offen lds             // 0000000029D8: E05D1000 80050020
	s_add_i32 m0, m0, 0x3c0                                    // 0000000029E0: 817CFF7C 000003C0
	buffer_load_dwordx4 v32, s[20:23], 0 offen offset:64 lds   // 0000000029E8: E05D1040 80050020
	s_add_i32 m0, m0, 0x3c0                                    // 0000000029F0: 817CFF7C 000003C0
	buffer_load_dwordx4 v32, s[20:23], 0 offen offset:128 lds  // 0000000029F8: E05D1080 80050020
	s_add_i32 m0, m0, 0x3c0                                    // 000000002A00: 817CFF7C 000003C0
	buffer_load_dwordx4 v32, s[20:23], 0 offen offset:192 lds  // 000000002A08: E05D10C0 80050020
	s_add_i32 m0, m0, 0x3c0                                    // 000000002A10: 817CFF7C 000003C0
	buffer_load_dwordx4 v32, s[20:23], 0 offen offset:256 lds  // 000000002A18: E05D1100 80050020
	s_add_i32 m0, m0, 0x3c0                                    // 000000002A20: 817CFF7C 000003C0
	buffer_load_dwordx4 v32, s[20:23], 0 offen offset:320 lds  // 000000002A28: E05D1140 80050020
	s_add_i32 m0, m0, 0x3c0                                    // 000000002A30: 817CFF7C 000003C0
	buffer_load_dwordx4 v32, s[20:23], 0 offen offset:384 lds  // 000000002A38: E05D1180 80050020
	s_add_i32 m0, m0, 0x3c0                                    // 000000002A40: 817CFF7C 000003C0
	buffer_load_dwordx4 v32, s[20:23], 0 offen offset:448 lds  // 000000002A48: E05D11C0 80050020
	s_add_i32 m0, m0, 0x3c0                                    // 000000002A50: 817CFF7C 000003C0
	buffer_load_dwordx4 v32, s[20:23], 0 offen offset:512 lds  // 000000002A58: E05D1200 80050020
	s_add_i32 m0, m0, 0x3c0                                    // 000000002A60: 817CFF7C 000003C0
	s_mov_b32 m0, s59                                          // 000000002A68: BEFC003B
	buffer_load_dwordx4 v33, s[20:23], 0 offen lds             // 000000002A6C: E05D1000 80050021
	s_add_i32 m0, m0, 0x3c0                                    // 000000002A74: 817CFF7C 000003C0
	buffer_load_dwordx4 v33, s[20:23], 0 offen offset:64 lds   // 000000002A7C: E05D1040 80050021
	s_add_i32 m0, m0, 0x3c0                                    // 000000002A84: 817CFF7C 000003C0
	buffer_load_dwordx4 v33, s[20:23], 0 offen offset:128 lds  // 000000002A8C: E05D1080 80050021
	s_add_i32 m0, m0, 0x3c0                                    // 000000002A94: 817CFF7C 000003C0
	buffer_load_dwordx4 v33, s[20:23], 0 offen offset:192 lds  // 000000002A9C: E05D10C0 80050021
	s_add_i32 m0, m0, 0x3c0                                    // 000000002AA4: 817CFF7C 000003C0
	buffer_load_dwordx4 v33, s[20:23], 0 offen offset:256 lds  // 000000002AAC: E05D1100 80050021
	s_add_i32 m0, m0, 0x3c0                                    // 000000002AB4: 817CFF7C 000003C0
	buffer_load_dwordx4 v33, s[20:23], 0 offen offset:320 lds  // 000000002ABC: E05D1140 80050021
	s_add_i32 m0, m0, 0x3c0                                    // 000000002AC4: 817CFF7C 000003C0
	buffer_load_dwordx4 v33, s[20:23], 0 offen offset:384 lds  // 000000002ACC: E05D1180 80050021
	s_add_i32 m0, m0, 0x3c0                                    // 000000002AD4: 817CFF7C 000003C0
	buffer_load_dwordx4 v33, s[20:23], 0 offen offset:448 lds  // 000000002ADC: E05D11C0 80050021
	s_add_i32 m0, m0, 0x3c0                                    // 000000002AE4: 817CFF7C 000003C0
	buffer_load_dwordx4 v33, s[20:23], 0 offen offset:512 lds  // 000000002AEC: E05D1200 80050021
	s_add_i32 m0, m0, 0x3c0                                    // 000000002AF4: 817CFF7C 000003C0
	buffer_load_dword v22, v26, s[24:27], 0 offen              // 000000002AFC: E0501000 8006161A
	buffer_load_dword v23, v27, s[24:27], 0 offen              // 000000002B04: E0501000 8006171B
	v_add_u32_e32 v26, s77, v26                                // 000000002B0C: 6834344D
	v_add_u32_e32 v27, s77, v27                                // 000000002B10: 6836364D
	v_lshrrev_b32_e32 v28, 4, v0                               // 000000002B14: 20380084
	v_lshlrev_b32_e32 v28, 2, v28                              // 000000002B18: 24383882
	v_sub_u32_e32 v29, 12, v28                                 // 000000002B1C: 6A3A388C
	v_mov_b32_e32 v30, v29                                     // 000000002B20: 7E3C031D
	s_nop 1                                                    // 000000002B24: BF800001
	v_permlane16_swap_b32_e32 v29, v30                         // 000000002B28: 7E3AB31E
	s_nop 1                                                    // 000000002B2C: BF800001
	v_permlane16_swap_b32_e32 v30, v29                         // 000000002B30: 7E3CB31D
	s_mov_b32 s60, 0xff00ff00                                  // 000000002B34: BEBC00FF FF00FF00
	s_mov_b32 s61, 0xff00ff00                                  // 000000002B3C: BEBD00FF FF00FF00
	v_cndmask_b32_e64 v30, v28, v29, s[60:61]                  // 000000002B44: D100001E 00F23B1C
	v_and_b32_e32 v28, 15, v0                                  // 000000002B4C: 2638008F
	v_lshlrev_b32_e32 v28, 4, v28                              // 000000002B50: 24383884
	v_add_u32_e32 v4, v28, v30                                 // 000000002B54: 68083D1C
	v_lshlrev_b32_e32 v4, 2, v4                                // 000000002B58: 24080882
	s_waitcnt vmcnt(20)                                        // 000000002B5C: BF8C4F74
	s_barrier                                                  // 000000002B60: BF8A0000
	ds_read_b128 a[0:3], v4                                    // 000000002B64: DBFE0000 00000004
	ds_read_b128 a[4:7], v4 offset:1024                        // 000000002B6C: DBFE0400 04000004
	ds_read_b128 a[8:11], v4 offset:2048                       // 000000002B74: DBFE0800 08000004
	ds_read_b128 a[12:15], v4 offset:3072                      // 000000002B7C: DBFE0C00 0C000004
	ds_read_b128 a[16:19], v4 offset:4096                      // 000000002B84: DBFE1000 10000004
	ds_read_b128 a[20:23], v4 offset:5120                      // 000000002B8C: DBFE1400 14000004
	ds_read_b128 a[24:27], v4 offset:6144                      // 000000002B94: DBFE1800 18000004
	ds_read_b128 a[28:31], v4 offset:7168                      // 000000002B9C: DBFE1C00 1C000004
	ds_read_b128 a[32:35], v4 offset:8192                      // 000000002BA4: DBFE2000 20000004
	v_mov_b32_e32 v74, 0                                       // 000000002BAC: 7E940280
	v_mov_b32_e32 v75, 0                                       // 000000002BB0: 7E960280
	v_mov_b32_e32 v76, 0                                       // 000000002BB4: 7E980280
	v_mov_b32_e32 v77, 0                                       // 000000002BB8: 7E9A0280
	v_mov_b32_e32 v78, 0                                       // 000000002BBC: 7E9C0280
	v_mov_b32_e32 v79, 0                                       // 000000002BC0: 7E9E0280
	v_mov_b32_e32 v80, 0                                       // 000000002BC4: 7EA00280
	v_mov_b32_e32 v81, 0                                       // 000000002BC8: 7EA20280
	v_mov_b32_e32 v82, 0                                       // 000000002BCC: 7EA40280
	v_mov_b32_e32 v83, 0                                       // 000000002BD0: 7EA60280
	v_mov_b32_e32 v84, 0                                       // 000000002BD4: 7EA80280
	v_mov_b32_e32 v85, 0                                       // 000000002BD8: 7EAA0280
	v_mov_b32_e32 v86, 0                                       // 000000002BDC: 7EAC0280
	v_mov_b32_e32 v87, 0                                       // 000000002BE0: 7EAE0280
	v_mov_b32_e32 v88, 0                                       // 000000002BE4: 7EB00280
	v_mov_b32_e32 v89, 0                                       // 000000002BE8: 7EB20280
	v_mov_b32_e32 v90, 0                                       // 000000002BEC: 7EB40280
	v_mov_b32_e32 v91, 0                                       // 000000002BF0: 7EB60280
	v_mov_b32_e32 v92, 0                                       // 000000002BF4: 7EB80280
	v_mov_b32_e32 v93, 0                                       // 000000002BF8: 7EBA0280
	v_mov_b32_e32 v94, 0                                       // 000000002BFC: 7EBC0280
	v_mov_b32_e32 v95, 0                                       // 000000002C00: 7EBE0280
	v_mov_b32_e32 v96, 0                                       // 000000002C04: 7EC00280
	v_mov_b32_e32 v97, 0                                       // 000000002C08: 7EC20280
	v_mov_b32_e32 v98, 0                                       // 000000002C0C: 7EC40280
	v_mov_b32_e32 v99, 0                                       // 000000002C10: 7EC60280
	v_mov_b32_e32 v100, 0                                      // 000000002C14: 7EC80280
	v_mov_b32_e32 v101, 0                                      // 000000002C18: 7ECA0280
	v_mov_b32_e32 v102, 0                                      // 000000002C1C: 7ECC0280
	v_mov_b32_e32 v103, 0                                      // 000000002C20: 7ECE0280
	v_mov_b32_e32 v104, 0                                      // 000000002C24: 7ED00280
	v_mov_b32_e32 v105, 0                                      // 000000002C28: 7ED20280
	v_lshrrev_b32_e32 v28, 4, v0                               // 000000002C2C: 20380084
	v_lshlrev_b32_e32 v28, 2, v28                              // 000000002C30: 24383882
	v_sub_u32_e32 v29, 12, v28                                 // 000000002C34: 6A3A388C
	v_mov_b32_e32 v30, v29                                     // 000000002C38: 7E3C031D
	s_nop 1                                                    // 000000002C3C: BF800001
	v_permlane16_swap_b32_e32 v29, v30                         // 000000002C40: 7E3AB31E
	s_nop 1                                                    // 000000002C44: BF800001
	v_permlane16_swap_b32_e32 v30, v29                         // 000000002C48: 7E3CB31D
	s_mov_b32 s60, 0xff00ff00                                  // 000000002C4C: BEBC00FF FF00FF00
	s_mov_b32 s61, 0xff00ff00                                  // 000000002C54: BEBD00FF FF00FF00
	v_cndmask_b32_e64 v30, v28, v29, s[60:61]                  // 000000002C5C: D100001E 00F23B1C
	v_and_b32_e32 v28, 15, v0                                  // 000000002C64: 2638008F
	v_lshlrev_b32_e32 v28, 4, v28                              // 000000002C68: 24383884
	v_add_u32_e32 v20, v28, v30                                // 000000002C6C: 68283D1C
	v_lshlrev_b32_e32 v21, 2, v20                              // 000000002C70: 242A2882
	s_mov_b32 s60, 0x4000                                      // 000000002C74: BEBC00FF 00004000
	v_add_u32_e32 v20, s60, v21                                // 000000002C7C: 68282A3C
	s_mov_b32 s61, 0x12000                                     // 000000002C80: BEBD00FF 00012000
	v_add_u32_e32 v21, s61, v20                                // 000000002C88: 682A283D
	s_mov_b32 s60, 0x4800                                      // 000000002C8C: BEBC00FF 00004800
	s_mul_i32 s60, s60, s7                                     // 000000002C94: 923C073C
	v_add_u32_e32 v20, s60, v20                                // 000000002C98: 6828283C
	v_add_u32_e32 v21, s60, v21                                // 000000002C9C: 682A2A3C
	v_and_b32_e32 v28, 15, v0                                  // 000000002CA0: 2638008F
	v_lshrrev_b32_e32 v28, 1, v28                              // 000000002CA4: 20383881
	v_lshlrev_b32_e32 v28, 4, v28                              // 000000002CA8: 24383884
	v_and_b32_e32 v29, 1, v0                                   // 000000002CAC: 263A0081
	v_lshlrev_b32_e32 v29, 1, v29                              // 000000002CB0: 243A3A81
	v_lshrrev_b32_e32 v31, 4, v0                               // 000000002CB4: 203E0084
	s_mov_b32 s60, 0x900                                       // 000000002CB8: BEBC00FF 00000900
	v_mul_i32_i24_e32 v31, s60, v31                            // 000000002CC0: 0C3E3E3C
	v_add_u32_e32 v6, v28, v29                                 // 000000002CC4: 680C3B1C
	v_add_u32_e32 v6, v31, v6                                  // 000000002CC8: 680C0D1F
	s_mov_b32 s60, 0x88                                        // 000000002CCC: BEBC00FF 00000088
	v_add_u32_e32 v7, s60, v6                                  // 000000002CD4: 680E0C3C
	s_mov_b32 s60, 8                                           // 000000002CD8: BEBC0088
	v_add_u32_e32 v8, s60, v6                                  // 000000002CDC: 68100C3C
	s_mov_b32 s60, 0x80                                        // 000000002CE0: BEBC00FF 00000080
	v_add_u32_e32 v9, s60, v6                                  // 000000002CE8: 68120C3C
	s_mov_b32 s60, s7                                          // 000000002CEC: BEBC0007
	s_mov_b32 s61, 0x200                                       // 000000002CF0: BEBD00FF 00000200
	s_mul_i32 s60, s61, s60                                    // 000000002CF8: 923C3C3D
	v_add_u32_e32 v6, s60, v6                                  // 000000002CFC: 680C0C3C
	v_add_u32_e32 v7, s60, v7                                  // 000000002D00: 680E0E3C
	v_add_u32_e32 v8, s60, v8                                  // 000000002D04: 6810103C
	v_add_u32_e32 v9, s60, v9                                  // 000000002D08: 6812123C
	v_lshlrev_b32_e32 v6, 2, v6                                // 000000002D0C: 240C0C82
	v_lshlrev_b32_e32 v7, 2, v7                                // 000000002D10: 240E0E82
	v_lshlrev_b32_e32 v8, 2, v8                                // 000000002D14: 24101082
	v_lshlrev_b32_e32 v9, 2, v9                                // 000000002D18: 24121282
	s_mov_b32 s60, 0x4000                                      // 000000002D1C: BEBC00FF 00004000
	v_add_u32_e32 v6, s60, v6                                  // 000000002D24: 680C0C3C
	v_add_u32_e32 v7, s60, v7                                  // 000000002D28: 680E0E3C
	v_add_u32_e32 v8, s60, v8                                  // 000000002D2C: 6810103C
	v_add_u32_e32 v9, s60, v9                                  // 000000002D30: 6812123C
	s_mov_b32 s60, 0x12000                                     // 000000002D34: BEBC00FF 00012000
	v_add_u32_e32 v10, s60, v6                                 // 000000002D3C: 68140C3C
	v_add_u32_e32 v11, s60, v7                                 // 000000002D40: 68160E3C
	v_add_u32_e32 v12, s60, v8                                 // 000000002D44: 6818103C
	v_add_u32_e32 v13, s60, v9                                 // 000000002D48: 681A123C
	v_mul_u32_u24_e64 v32, v24, s72                            // 000000002D4C: D1080020 00009118
	v_mul_u32_u24_e64 v33, v25, s72                            // 000000002D54: D1080021 00009119
	v_add_u32_e32 v32, v32, v1                                 // 000000002D5C: 68400320
	v_add_u32_e32 v33, v33, v1                                 // 000000002D60: 68420321
	s_mov_b32 m0, s56                                          // 000000002D64: BEFC0038
	buffer_load_dwordx4 v32, s[20:23], 0 offen lds             // 000000002D68: E05D1000 80050020
	s_add_i32 m0, m0, 0x3c0                                    // 000000002D70: 817CFF7C 000003C0
	buffer_load_dwordx4 v32, s[20:23], 0 offen offset:64 lds   // 000000002D78: E05D1040 80050020
	s_add_i32 m0, m0, 0x3c0                                    // 000000002D80: 817CFF7C 000003C0
	buffer_load_dwordx4 v32, s[20:23], 0 offen offset:128 lds  // 000000002D88: E05D1080 80050020
	s_add_i32 m0, m0, 0x3c0                                    // 000000002D90: 817CFF7C 000003C0
	buffer_load_dwordx4 v32, s[20:23], 0 offen offset:192 lds  // 000000002D98: E05D10C0 80050020
	s_add_i32 m0, m0, 0x3c0                                    // 000000002DA0: 817CFF7C 000003C0
	buffer_load_dwordx4 v32, s[20:23], 0 offen offset:256 lds  // 000000002DA8: E05D1100 80050020
	s_add_i32 m0, m0, 0x3c0                                    // 000000002DB0: 817CFF7C 000003C0
	buffer_load_dwordx4 v32, s[20:23], 0 offen offset:320 lds  // 000000002DB8: E05D1140 80050020
	s_add_i32 m0, m0, 0x3c0                                    // 000000002DC0: 817CFF7C 000003C0
	buffer_load_dwordx4 v32, s[20:23], 0 offen offset:384 lds  // 000000002DC8: E05D1180 80050020
	s_add_i32 m0, m0, 0x3c0                                    // 000000002DD0: 817CFF7C 000003C0
	buffer_load_dwordx4 v32, s[20:23], 0 offen offset:448 lds  // 000000002DD8: E05D11C0 80050020
	s_add_i32 m0, m0, 0x3c0                                    // 000000002DE0: 817CFF7C 000003C0
	buffer_load_dwordx4 v32, s[20:23], 0 offen offset:512 lds  // 000000002DE8: E05D1200 80050020
	s_add_i32 m0, m0, 0x3c0                                    // 000000002DF0: 817CFF7C 000003C0
	s_mov_b32 m0, s57                                          // 000000002DF8: BEFC0039
	buffer_load_dwordx4 v33, s[20:23], 0 offen lds             // 000000002DFC: E05D1000 80050021
	s_add_i32 m0, m0, 0x3c0                                    // 000000002E04: 817CFF7C 000003C0
	buffer_load_dwordx4 v33, s[20:23], 0 offen offset:64 lds   // 000000002E0C: E05D1040 80050021
	s_add_i32 m0, m0, 0x3c0                                    // 000000002E14: 817CFF7C 000003C0
	buffer_load_dwordx4 v33, s[20:23], 0 offen offset:128 lds  // 000000002E1C: E05D1080 80050021
	s_add_i32 m0, m0, 0x3c0                                    // 000000002E24: 817CFF7C 000003C0
	buffer_load_dwordx4 v33, s[20:23], 0 offen offset:192 lds  // 000000002E2C: E05D10C0 80050021
	s_add_i32 m0, m0, 0x3c0                                    // 000000002E34: 817CFF7C 000003C0
	buffer_load_dwordx4 v33, s[20:23], 0 offen offset:256 lds  // 000000002E3C: E05D1100 80050021
	s_add_i32 m0, m0, 0x3c0                                    // 000000002E44: 817CFF7C 000003C0
	buffer_load_dwordx4 v33, s[20:23], 0 offen offset:320 lds  // 000000002E4C: E05D1140 80050021
	s_add_i32 m0, m0, 0x3c0                                    // 000000002E54: 817CFF7C 000003C0
	buffer_load_dwordx4 v33, s[20:23], 0 offen offset:384 lds  // 000000002E5C: E05D1180 80050021
	s_add_i32 m0, m0, 0x3c0                                    // 000000002E64: 817CFF7C 000003C0
	buffer_load_dwordx4 v33, s[20:23], 0 offen offset:448 lds  // 000000002E6C: E05D11C0 80050021
	s_add_i32 m0, m0, 0x3c0                                    // 000000002E74: 817CFF7C 000003C0
	buffer_load_dwordx4 v33, s[20:23], 0 offen offset:512 lds  // 000000002E7C: E05D1200 80050021
	s_add_i32 m0, m0, 0x3c0                                    // 000000002E84: 817CFF7C 000003C0
	buffer_load_dword v24, v26, s[24:27], 0 offen              // 000000002E8C: E0501000 8006181A
	buffer_load_dword v25, v27, s[24:27], 0 offen              // 000000002E94: E0501000 8006191B
	v_add_u32_e32 v26, s77, v26                                // 000000002E9C: 6834344D
	v_add_u32_e32 v27, s77, v27                                // 000000002EA0: 6836364D
	s_waitcnt vmcnt(20)                                        // 000000002EA4: BF8C4F74
	s_barrier                                                  // 000000002EA8: BF8A0000
	s_waitcnt lgkmcnt(0)                                       // 000000002EAC: BF8CC07F
	ds_read_b64_tr_b8 a[120:121], v10                          // 000000002EB0: DBC40000 7800000A
	ds_read_b64_tr_b8 a[122:123], v11                          // 000000002EB8: DBC40000 7A00000B
	ds_read_b64_tr_b8 a[124:125], v10 offset:36864             // 000000002EC0: DBC49000 7C00000A
	ds_read_b64_tr_b8 a[126:127], v11 offset:36864             // 000000002EC8: DBC49000 7E00000B
	ds_read_b64_tr_b8 a[128:129], v10 offset:16                // 000000002ED0: DBC40010 8000000A
	ds_read_b64_tr_b8 a[130:131], v11 offset:16                // 000000002ED8: DBC40010 8200000B
	ds_read_b64_tr_b8 a[132:133], v10 offset:36880             // 000000002EE0: DBC49010 8400000A
	ds_read_b64_tr_b8 a[134:135], v11 offset:36880             // 000000002EE8: DBC49010 8600000B
	ds_read_b64_tr_b8 a[136:137], v12                          // 000000002EF0: DBC40000 8800000C
	ds_read_b64_tr_b8 a[138:139], v13                          // 000000002EF8: DBC40000 8A00000D
	ds_read_b64_tr_b8 a[140:141], v12 offset:36864             // 000000002F00: DBC49000 8C00000C
	ds_read_b64_tr_b8 a[142:143], v13 offset:36864             // 000000002F08: DBC49000 8E00000D
	ds_read_b64_tr_b8 a[144:145], v12 offset:16                // 000000002F10: DBC40010 9000000C
	ds_read_b64_tr_b8 a[146:147], v13 offset:16                // 000000002F18: DBC40010 9200000D
	ds_read_b64_tr_b8 a[148:149], v12 offset:36880             // 000000002F20: DBC49010 9400000C
	ds_read_b64_tr_b8 a[150:151], v13 offset:36880             // 000000002F28: DBC49010 9600000D
	ds_read_b64_tr_b8 a[152:153], v10 offset:1024              // 000000002F30: DBC40400 9800000A
	ds_read_b64_tr_b8 a[154:155], v11 offset:1024              // 000000002F38: DBC40400 9A00000B
	ds_read_b64_tr_b8 a[156:157], v10 offset:37888             // 000000002F40: DBC49400 9C00000A
	ds_read_b64_tr_b8 a[158:159], v11 offset:37888             // 000000002F48: DBC49400 9E00000B
	ds_read_b64_tr_b8 a[160:161], v10 offset:1040              // 000000002F50: DBC40410 A000000A
	ds_read_b64_tr_b8 a[162:163], v11 offset:1040              // 000000002F58: DBC40410 A200000B
	ds_read_b64_tr_b8 a[164:165], v10 offset:37904             // 000000002F60: DBC49410 A400000A
	ds_read_b64_tr_b8 a[166:167], v11 offset:37904             // 000000002F68: DBC49410 A600000B
	ds_read_b64_tr_b8 a[168:169], v12 offset:1024              // 000000002F70: DBC40400 A800000C
	ds_read_b64_tr_b8 a[170:171], v13 offset:1024              // 000000002F78: DBC40400 AA00000D
	ds_read_b64_tr_b8 a[172:173], v12 offset:37888             // 000000002F80: DBC49400 AC00000C
	ds_read_b64_tr_b8 a[174:175], v13 offset:37888             // 000000002F88: DBC49400 AE00000D
	ds_read_b64_tr_b8 a[176:177], v12 offset:1040              // 000000002F90: DBC40410 B000000C
	ds_read_b64_tr_b8 a[178:179], v13 offset:1040              // 000000002F98: DBC40410 B200000D
	ds_read_b64_tr_b8 a[180:181], v12 offset:37904             // 000000002FA0: DBC49410 B400000C
	ds_read_b64_tr_b8 a[182:183], v13 offset:37904             // 000000002FA8: DBC49410 B600000D
	ds_read_b128 a[40:43], v21                                 // 000000002FB0: DBFE0000 28000015
	ds_read_b128 a[44:47], v21 offset:1024                     // 000000002FB8: DBFE0400 2C000015
	ds_read_b128 a[48:51], v21 offset:2048                     // 000000002FC0: DBFE0800 30000015
	ds_read_b128 a[52:55], v21 offset:3072                     // 000000002FC8: DBFE0C00 34000015
	ds_read_b128 a[56:59], v21 offset:4096                     // 000000002FD0: DBFE1000 38000015
	ds_read_b128 a[60:63], v21 offset:5120                     // 000000002FD8: DBFE1400 3C000015
	ds_read_b128 a[64:67], v21 offset:6144                     // 000000002FE0: DBFE1800 40000015
	ds_read_b128 a[68:71], v21 offset:7168                     // 000000002FE8: DBFE1C00 44000015
	ds_read_b128 a[72:75], v21 offset:8192                     // 000000002FF0: DBFE2000 48000015
	s_cmp_lt_u32 s75, 1                                        // 000000002FF8: BF0A814B
	s_cbranch_scc1 label_2314                                  // 000000002FFC: BF8505C5
	s_cmp_lt_i32 s7, 2                                         // 000000003000: BF048207
	s_cbranch_scc0 label_1790                                  // 000000003004: BF8402E2

0000000000003008 <label_0C08>:
	s_waitcnt lgkmcnt(4)                                       // 000000003008: BF8CC47F
	v_mfma_f32_16x16x128_f8f6f4 v[38:41], a[40:47], a[0:7], 0  // 00000000300C: D3AD0026 1A020128
	v_mul_u32_u24_e64 v32, v22, s72                            // 000000003014: D1080020 00009116
	v_mul_u32_u24_e64 v33, v23, s72                            // 00000000301C: D1080021 00009117
	v_add_u32_e32 v32, v32, v1                                 // 000000003024: 68400320
	v_add_u32_e32 v33, v33, v1                                 // 000000003028: 68420321
	buffer_load_dword v22, v26, s[24:27], 0 offen              // 00000000302C: E0501000 8006161A
	buffer_load_dword v23, v27, s[24:27], 0 offen              // 000000003034: E0501000 8006171B
	s_mov_b32 m0, s58                                          // 00000000303C: BEFC003A
	buffer_load_dwordx4 v32, s[20:23], 0 offen lds             // 000000003040: E05D1000 80050020
	s_add_i32 m0, m0, 0x3c0                                    // 000000003048: 817CFF7C 000003C0
	v_mfma_f32_16x16x128_f8f6f4 v[38:41], a[48:55], a[8:15], v[38:41]// 000000003050: D3AD0026 1C9A1130
	ds_read_b128 a[80:83], v21 offset:9216                     // 000000003058: DBFE2400 50000015
	v_mfma_f32_16x16x128_f8f6f4 v[38:41], a[56:63], a[16:23], v[38:41]// 000000003060: D3AD0026 1C9A2138
	buffer_load_dwordx4 v32, s[20:23], 0 offen offset:64 lds   // 000000003068: E05D1040 80050020
	s_add_i32 m0, m0, 0x3c0                                    // 000000003070: 817CFF7C 000003C0
	v_mfma_f32_16x16x128_f8f6f4 v[38:41], a[64:71], a[24:31], v[38:41]// 000000003078: D3AD0026 1C9A3140
	ds_read_b128 a[84:87], v21 offset:10240                    // 000000003080: DBFE2800 54000015
	v_mfma_f32_16x16x128_f8f6f4 v[38:41], a[72:79], a[32:39], v[38:41]// 000000003088: D3AD0026 1C9A4148
	buffer_load_dwordx4 v32, s[20:23], 0 offen offset:128 lds  // 000000003090: E05D1080 80050020
	s_add_i32 m0, m0, 0x3c0                                    // 000000003098: 817CFF7C 000003C0
	buffer_load_dwordx4 v32, s[20:23], 0 offen offset:192 lds  // 0000000030A0: E05D10C0 80050020
	s_add_i32 m0, m0, 0x3c0                                    // 0000000030A8: 817CFF7C 000003C0
	buffer_load_dwordx4 v32, s[20:23], 0 offen offset:256 lds  // 0000000030B0: E05D1100 80050020
	s_add_i32 m0, m0, 0x3c0                                    // 0000000030B8: 817CFF7C 000003C0
	buffer_load_dwordx4 v32, s[20:23], 0 offen offset:320 lds  // 0000000030C0: E05D1140 80050020
	s_add_i32 m0, m0, 0x3c0                                    // 0000000030C8: 817CFF7C 000003C0
	buffer_load_dwordx4 v32, s[20:23], 0 offen offset:384 lds  // 0000000030D0: E05D1180 80050020
	s_add_i32 m0, m0, 0x3c0                                    // 0000000030D8: 817CFF7C 000003C0
	buffer_load_dwordx4 v32, s[20:23], 0 offen offset:448 lds  // 0000000030E0: E05D11C0 80050020
	s_add_i32 m0, m0, 0x3c0                                    // 0000000030E8: 817CFF7C 000003C0
	buffer_load_dwordx4 v32, s[20:23], 0 offen offset:512 lds  // 0000000030F0: E05D1200 80050020
	s_add_i32 m0, m0, 0x3c0                                    // 0000000030F8: 817CFF7C 000003C0
	ds_read_b128 a[88:91], v21 offset:11264                    // 000000003100: DBFE2C00 58000015
	ds_read_b128 a[92:95], v21 offset:12288                    // 000000003108: DBFE3000 5C000015
	ds_read_b128 a[96:99], v21 offset:13312                    // 000000003110: DBFE3400 60000015
	ds_read_b128 a[100:103], v21 offset:14336                  // 000000003118: DBFE3800 64000015
	ds_read_b128 a[104:107], v21 offset:15360                  // 000000003120: DBFE3C00 68000015
	ds_read_b128 a[108:111], v21 offset:16384                  // 000000003128: DBFE4000 6C000015
	ds_read_b128 a[112:115], v21 offset:17408                  // 000000003130: DBFE4400 70000015
	v_add_u32_e32 v26, s77, v26                                // 000000003138: 6834344D
	v_add_u32_e32 v27, s77, v27                                // 00000000313C: 6836364D
	s_waitcnt lgkmcnt(0)                                       // 000000003140: BF8CC07F
	v_mfma_f32_16x16x128_f8f6f4 v[42:45], a[80:87], a[0:7], 0  // 000000003144: D3AD002A 1A020150
	s_mov_b32 m0, s59                                          // 00000000314C: BEFC003B
	buffer_load_dwordx4 v33, s[20:23], 0 offen lds             // 000000003150: E05D1000 80050021
	s_add_i32 m0, m0, 0x3c0                                    // 000000003158: 817CFF7C 000003C0
	v_mfma_f32_16x16x128_f8f6f4 v[42:45], a[88:95], a[8:15], v[42:45]// 000000003160: D3AD002A 1CAA1158
	v_mfma_f32_16x16x128_f8f6f4 v[42:45], a[96:103], a[16:23], v[42:45]// 000000003168: D3AD002A 1CAA2160
	buffer_load_dwordx4 v33, s[20:23], 0 offen offset:64 lds   // 000000003170: E05D1040 80050021
	s_add_i32 m0, m0, 0x3c0                                    // 000000003178: 817CFF7C 000003C0
	v_mfma_f32_16x16x128_f8f6f4 v[42:45], a[104:111], a[24:31], v[42:45]// 000000003180: D3AD002A 1CAA3168
	v_mfma_f32_16x16x128_f8f6f4 v[42:45], a[112:119], a[32:39], v[42:45]// 000000003188: D3AD002A 1CAA4170
	buffer_load_dwordx4 v33, s[20:23], 0 offen offset:128 lds  // 000000003190: E05D1080 80050021
	s_add_i32 m0, m0, 0x3c0                                    // 000000003198: 817CFF7C 000003C0
	buffer_load_dwordx4 v33, s[20:23], 0 offen offset:192 lds  // 0000000031A0: E05D10C0 80050021
	s_add_i32 m0, m0, 0x3c0                                    // 0000000031A8: 817CFF7C 000003C0
	buffer_load_dwordx4 v33, s[20:23], 0 offen offset:256 lds  // 0000000031B0: E05D1100 80050021
	s_add_i32 m0, m0, 0x3c0                                    // 0000000031B8: 817CFF7C 000003C0
	buffer_load_dwordx4 v33, s[20:23], 0 offen offset:320 lds  // 0000000031C0: E05D1140 80050021
	s_add_i32 m0, m0, 0x3c0                                    // 0000000031C8: 817CFF7C 000003C0
	buffer_load_dwordx4 v33, s[20:23], 0 offen offset:384 lds  // 0000000031D0: E05D1180 80050021
	s_add_i32 m0, m0, 0x3c0                                    // 0000000031D8: 817CFF7C 000003C0
	buffer_load_dwordx4 v33, s[20:23], 0 offen offset:448 lds  // 0000000031E0: E05D11C0 80050021
	s_add_i32 m0, m0, 0x3c0                                    // 0000000031E8: 817CFF7C 000003C0
	buffer_load_dwordx4 v33, s[20:23], 0 offen offset:512 lds  // 0000000031F0: E05D1200 80050021
	s_add_i32 m0, m0, 0x3c0                                    // 0000000031F8: 817CFF7C 000003C0
	s_nop 2                                                    // 000000003200: BF800002
	v_mov_b32_e32 v29, v38                                     // 000000003204: 7E3A0326
	v_max3_f32 v29, v38, v39, v29                              // 000000003208: D1D3001D 04764F26
	v_max3_f32 v29, v40, v41, v29                              // 000000003210: D1D3001D 04765328
	v_max3_f32 v29, v42, v43, v29                              // 000000003218: D1D3001D 0476572A
	v_max3_f32 v29, v44, v45, v29                              // 000000003220: D1D3001D 04765B2C
	v_mov_b32_e32 v28, v29                                     // 000000003228: 7E38031D
	v_mov_b32_e32 v29, v29                                     // 00000000322C: 7E3A031D
	s_nop 1                                                    // 000000003230: BF800001
	v_permlane16_swap_b32_e32 v28, v29                         // 000000003234: 7E38B31D
	v_mov_b32_e32 v31, v28                                     // 000000003238: 7E3E031C
	v_mov_b32_e32 v30, v29                                     // 00000000323C: 7E3C031D
	s_nop 1                                                    // 000000003240: BF800001
	v_permlane32_swap_b32_e32 v28, v29                         // 000000003244: 7E38B51D
	v_permlane32_swap_b32_e32 v30, v31                         // 000000003248: 7E3CB51F
	v_max3_f32 v29, v28, v29, v29                              // 00000000324C: D1D3001D 04763B1C
	v_max3_f32 v29, v30, v31, v29                              // 000000003254: D1D3001D 04763F1E
	ds_write_b32 v36, v29                                      // 00000000325C: D81A0000 00001D24
	s_waitcnt lgkmcnt(0)                                       // 000000003264: BF8CC07F
	s_barrier                                                  // 000000003268: BF8A0000
	ds_read_b32 v46, v37                                       // 00000000326C: D86C0000 2E000025
	ds_read_b32 v47, v37 offset:256                            // 000000003274: D86C0100 2F000025
	ds_read_b32 v48, v37 offset:512                            // 00000000327C: D86C0200 30000025
	ds_read_b32 v49, v37 offset:768                            // 000000003284: D86C0300 31000025
	s_waitcnt lgkmcnt(0)                                       // 00000000328C: BF8CC07F
	v_max3_f32 v29, v46, v47, v29                              // 000000003290: D1D3001D 04765F2E
	v_max3_f32 v29, v48, v49, v29                              // 000000003298: D1D3001D 04766330
	v_mov_b32_e32 v28, 0xff800000                              // 0000000032A0: 7E3802FF FF800000
	v_cmp_eq_u32_e64 s[36:37], v28, v2                         // 0000000032A8: D0CA0024 0002051C
	v_max_f32_e32 v29, v29, v2                                 // 0000000032B0: 163A051D
	v_sub_f32_e32 v18, v2, v29                                 // 0000000032B4: 04243B02
	v_cndmask_b32_e64 v18, v18, 0, s[36:37]                    // 0000000032B8: D1000012 00910112
	v_mov_b32_e32 v2, v29                                      // 0000000032C0: 7E04031D
	v_mul_f32_e32 v29, s100, v29                               // 0000000032C4: 0A3A3A64
	v_mul_f32_e32 v18, s100, v18                               // 0000000032C8: 0A242464
	v_exp_f32_e32 v18, v18                                     // 0000000032CC: 7E244112
	s_mov_b32 s101, s100                                       // 0000000032D0: BEE50064
	v_add_f32_e64 v30, 0, -v29                                 // 0000000032D4: D101001E 40023A80
	v_mov_b32_e32 v31, v30                                     // 0000000032DC: 7E3E031E
	v_pk_fma_f32 v[38:39], v[38:39], s[100:101], v[30:31]      // 0000000032E0: D3B04026 1C78C926
	v_pk_fma_f32 v[40:41], v[40:41], s[100:101], v[30:31]      // 0000000032E8: D3B04028 1C78C928
	v_pk_fma_f32 v[42:43], v[42:43], s[100:101], v[30:31]      // 0000000032F0: D3B0402A 1C78C92A
	v_pk_fma_f32 v[44:45], v[44:45], s[100:101], v[30:31]      // 0000000032F8: D3B0402C 1C78C92C
	v_exp_f32_e32 v38, v38                                     // 000000003300: 7E4C4126
	v_exp_f32_e32 v39, v39                                     // 000000003304: 7E4E4127
	v_exp_f32_e32 v40, v40                                     // 000000003308: 7E504128
	v_exp_f32_e32 v41, v41                                     // 00000000330C: 7E524129
	v_exp_f32_e32 v42, v42                                     // 000000003310: 7E54412A
	v_exp_f32_e32 v43, v43                                     // 000000003314: 7E56412B
	v_exp_f32_e32 v44, v44                                     // 000000003318: 7E58412C
	v_exp_f32_e32 v45, v45                                     // 00000000331C: 7E5A412D
	v_mul_f32_e32 v4, v18, v4                                  // 000000003320: 0A080912
	v_mov_b32_e32 v28, v38                                     // 000000003324: 7E380326
	v_add_f32_e32 v28, v39, v28                                // 000000003328: 02383927
	v_add_f32_e32 v28, v40, v28                                // 00000000332C: 02383928
	v_add_f32_e32 v28, v41, v28                                // 000000003330: 02383929
	v_add_f32_e32 v28, v42, v28                                // 000000003334: 0238392A
	v_add_f32_e32 v28, v43, v28                                // 000000003338: 0238392B
	v_add_f32_e32 v28, v44, v28                                // 00000000333C: 0238392C
	v_add_f32_e32 v28, v45, v28                                // 000000003340: 0238392D
	v_add_f32_e32 v4, v28, v4                                  // 000000003344: 0208091C
	v_cvt_pk_fp8_f32 v38, v38, v39                             // 000000003348: D2A20026 00024F26
	v_cvt_pk_fp8_f32 v38, v40, v41 op_sel:[0,0,1]              // 000000003350: D2A24026 00025328
	v_cvt_pk_fp8_f32 v39, v42, v43                             // 000000003358: D2A20027 0002572A
	v_cvt_pk_fp8_f32 v39, v44, v45 op_sel:[0,0,1]              // 000000003360: D2A24027 00025B2C
	s_nop 0                                                    // 000000003368: BF800000
	v_permlane16_swap_b32_e32 v38, v39                         // 00000000336C: 7E4CB327
	ds_write_b64 v34, v[38:39]                                 // 000000003370: D89A0000 00002622
	s_waitcnt lgkmcnt(0)                                       // 000000003378: BF8CC07F
	s_barrier                                                  // 00000000337C: BF8A0000
	ds_read_b64 v[38:39], v35                                  // 000000003380: D8EC0000 26000023
	ds_read_b64 v[40:41], v35 offset:256                       // 000000003388: D8EC0100 28000023
	ds_read_b64 v[42:43], v35 offset:1024                      // 000000003390: D8EC0400 2A000023
	ds_read_b64 v[44:45], v35 offset:1280                      // 000000003398: D8EC0500 2C000023
	v_mul_f32_e32 v74, v18, v74                                // 0000000033A0: 0A949512
	v_mul_f32_e32 v75, v18, v75                                // 0000000033A4: 0A969712
	v_mul_f32_e32 v76, v18, v76                                // 0000000033A8: 0A989912
	v_mul_f32_e32 v77, v18, v77                                // 0000000033AC: 0A9A9B12
	v_mul_f32_e32 v78, v18, v78                                // 0000000033B0: 0A9C9D12
	v_mul_f32_e32 v79, v18, v79                                // 0000000033B4: 0A9E9F12
	v_mul_f32_e32 v80, v18, v80                                // 0000000033B8: 0AA0A112
	v_mul_f32_e32 v81, v18, v81                                // 0000000033BC: 0AA2A312
	v_mul_f32_e32 v82, v18, v82                                // 0000000033C0: 0AA4A512
	v_mul_f32_e32 v83, v18, v83                                // 0000000033C4: 0AA6A712
	v_mul_f32_e32 v84, v18, v84                                // 0000000033C8: 0AA8A912
	v_mul_f32_e32 v85, v18, v85                                // 0000000033CC: 0AAAAB12
	v_mul_f32_e32 v86, v18, v86                                // 0000000033D0: 0AACAD12
	v_mul_f32_e32 v87, v18, v87                                // 0000000033D4: 0AAEAF12
	v_mul_f32_e32 v88, v18, v88                                // 0000000033D8: 0AB0B112
	v_mul_f32_e32 v89, v18, v89                                // 0000000033DC: 0AB2B312
	v_mul_f32_e32 v90, v18, v90                                // 0000000033E0: 0AB4B512
	v_mul_f32_e32 v91, v18, v91                                // 0000000033E4: 0AB6B712
	v_mul_f32_e32 v92, v18, v92                                // 0000000033E8: 0AB8B912
	v_mul_f32_e32 v93, v18, v93                                // 0000000033EC: 0ABABB12
	v_mul_f32_e32 v94, v18, v94                                // 0000000033F0: 0ABCBD12
	v_mul_f32_e32 v95, v18, v95                                // 0000000033F4: 0ABEBF12
	v_mul_f32_e32 v96, v18, v96                                // 0000000033F8: 0AC0C112
	v_mul_f32_e32 v97, v18, v97                                // 0000000033FC: 0AC2C312
	v_mul_f32_e32 v98, v18, v98                                // 000000003400: 0AC4C512
	v_mul_f32_e32 v99, v18, v99                                // 000000003404: 0AC6C712
	v_mul_f32_e32 v100, v18, v100                              // 000000003408: 0AC8C912
	v_mul_f32_e32 v101, v18, v101                              // 00000000340C: 0ACACB12
	v_mul_f32_e32 v102, v18, v102                              // 000000003410: 0ACCCD12
	v_mul_f32_e32 v103, v18, v103                              // 000000003414: 0ACECF12
	v_mul_f32_e32 v104, v18, v104                              // 000000003418: 0AD0D112
	v_mul_f32_e32 v105, v18, v105                              // 00000000341C: 0AD2D312
	s_waitcnt lgkmcnt(0)                                       // 000000003420: BF8CC07F
	s_waitcnt vmcnt(20)                                        // 000000003424: BF8C4F74
	s_barrier                                                  // 000000003428: BF8A0000
	v_mfma_f32_16x16x128_f8f6f4 v[74:77], a[120:127], v[38:45], v[74:77]// 00000000342C: D3AD004A 0D2A4D78
	v_mfma_f32_16x16x128_f8f6f4 v[78:81], a[128:135], v[38:45], v[78:81]// 000000003434: D3AD004E 0D3A4D80
	ds_read_b64_tr_b8 a[128:129], v6 offset:16                 // 00000000343C: DBC40010 80000006
	ds_read_b64_tr_b8 a[130:131], v7 offset:16                 // 000000003444: DBC40010 82000007
	ds_read_b64_tr_b8 a[132:133], v6 offset:36880              // 00000000344C: DBC49010 84000006
	ds_read_b64_tr_b8 a[134:135], v7 offset:36880              // 000000003454: DBC49010 86000007
	v_mfma_f32_16x16x128_f8f6f4 v[82:85], a[136:143], v[38:45], v[82:85]// 00000000345C: D3AD0052 0D4A4D88
	v_mfma_f32_16x16x128_f8f6f4 v[86:89], a[144:151], v[38:45], v[86:89]// 000000003464: D3AD0056 0D5A4D90
	ds_read_b64_tr_b8 a[144:145], v8 offset:16                 // 00000000346C: DBC40010 90000008
	ds_read_b64_tr_b8 a[146:147], v9 offset:16                 // 000000003474: DBC40010 92000009
	ds_read_b64_tr_b8 a[148:149], v8 offset:36880              // 00000000347C: DBC49010 94000008
	ds_read_b64_tr_b8 a[150:151], v9 offset:36880              // 000000003484: DBC49010 96000009
	v_mfma_f32_16x16x128_f8f6f4 v[90:93], a[152:159], v[38:45], v[90:93]// 00000000348C: D3AD005A 0D6A4D98
	v_mfma_f32_16x16x128_f8f6f4 v[94:97], a[160:167], v[38:45], v[94:97]// 000000003494: D3AD005E 0D7A4DA0
	ds_read_b64_tr_b8 a[160:161], v6 offset:1040               // 00000000349C: DBC40410 A0000006
	ds_read_b64_tr_b8 a[162:163], v7 offset:1040               // 0000000034A4: DBC40410 A2000007
	ds_read_b64_tr_b8 a[164:165], v6 offset:37904              // 0000000034AC: DBC49410 A4000006
	ds_read_b64_tr_b8 a[166:167], v7 offset:37904              // 0000000034B4: DBC49410 A6000007
	v_mfma_f32_16x16x128_f8f6f4 v[98:101], a[168:175], v[38:45], v[98:101]// 0000000034BC: D3AD0062 0D8A4DA8
	v_mfma_f32_16x16x128_f8f6f4 v[102:105], a[176:183], v[38:45], v[102:105]// 0000000034C4: D3AD0066 0D9A4DB0
	ds_read_b64_tr_b8 a[176:177], v8 offset:1040               // 0000000034CC: DBC40410 B0000008
	ds_read_b64_tr_b8 a[178:179], v9 offset:1040               // 0000000034D4: DBC40410 B2000009
	ds_read_b64_tr_b8 a[180:181], v8 offset:37904              // 0000000034DC: DBC49410 B4000008
	ds_read_b64_tr_b8 a[182:183], v9 offset:37904              // 0000000034E4: DBC49410 B6000009
	ds_read_b64_tr_b8 a[120:121], v6                           // 0000000034EC: DBC40000 78000006
	ds_read_b64_tr_b8 a[122:123], v7                           // 0000000034F4: DBC40000 7A000007
	ds_read_b64_tr_b8 a[124:125], v6 offset:36864              // 0000000034FC: DBC49000 7C000006
	ds_read_b64_tr_b8 a[126:127], v7 offset:36864              // 000000003504: DBC49000 7E000007
	ds_read_b64_tr_b8 a[136:137], v8                           // 00000000350C: DBC40000 88000008
	ds_read_b64_tr_b8 a[138:139], v9                           // 000000003514: DBC40000 8A000009
	ds_read_b64_tr_b8 a[140:141], v8 offset:36864              // 00000000351C: DBC49000 8C000008
	ds_read_b64_tr_b8 a[142:143], v9 offset:36864              // 000000003524: DBC49000 8E000009
	ds_read_b64_tr_b8 a[152:153], v6 offset:1024               // 00000000352C: DBC40400 98000006
	ds_read_b64_tr_b8 a[154:155], v7 offset:1024               // 000000003534: DBC40400 9A000007
	ds_read_b64_tr_b8 a[156:157], v6 offset:37888              // 00000000353C: DBC49400 9C000006
	ds_read_b64_tr_b8 a[158:159], v7 offset:37888              // 000000003544: DBC49400 9E000007
	ds_read_b64_tr_b8 a[168:169], v8 offset:1024               // 00000000354C: DBC40400 A8000008
	ds_read_b64_tr_b8 a[170:171], v9 offset:1024               // 000000003554: DBC40400 AA000009
	ds_read_b64_tr_b8 a[172:173], v8 offset:37888              // 00000000355C: DBC49400 AC000008
	ds_read_b64_tr_b8 a[174:175], v9 offset:37888              // 000000003564: DBC49400 AE000009
	s_waitcnt lgkmcnt(0)                                       // 00000000356C: BF8CC07F
	ds_read_b128 a[44:47], v20 offset:1024                     // 000000003570: DBFE0400 2C000014
	ds_read_b128 a[52:55], v20 offset:3072                     // 000000003578: DBFE0C00 34000014
	ds_read_b128 a[60:63], v20 offset:5120                     // 000000003580: DBFE1400 3C000014
	ds_read_b128 a[68:71], v20 offset:7168                     // 000000003588: DBFE1C00 44000014
	ds_read_b128 a[40:43], v20                                 // 000000003590: DBFE0000 28000014
	ds_read_b128 a[48:51], v20 offset:2048                     // 000000003598: DBFE0800 30000014
	ds_read_b128 a[56:59], v20 offset:4096                     // 0000000035A0: DBFE1000 38000014
	ds_read_b128 a[64:67], v20 offset:6144                     // 0000000035A8: DBFE1800 40000014
	ds_read_b128 a[72:75], v20 offset:8192                     // 0000000035B0: DBFE2000 48000014
	s_addk_i32 s74, 0x1                                        // 0000000035B8: B74A0001
	s_cmp_lt_i32 s74, s75                                      // 0000000035BC: BF044B4A
	s_cbranch_scc0 label_1784                                  // 0000000035C0: BF840170
	s_waitcnt lgkmcnt(4)                                       // 0000000035C4: BF8CC47F
	v_mfma_f32_16x16x128_f8f6f4 v[38:41], a[40:47], a[0:7], 0  // 0000000035C8: D3AD0026 1A020128
	v_mul_u32_u24_e64 v32, v24, s72                            // 0000000035D0: D1080020 00009118
	v_mul_u32_u24_e64 v33, v25, s72                            // 0000000035D8: D1080021 00009119
	v_add_u32_e32 v32, v32, v1                                 // 0000000035E0: 68400320
	v_add_u32_e32 v33, v33, v1                                 // 0000000035E4: 68420321
	buffer_load_dword v24, v26, s[24:27], 0 offen              // 0000000035E8: E0501000 8006181A
	buffer_load_dword v25, v27, s[24:27], 0 offen              // 0000000035F0: E0501000 8006191B
	s_mov_b32 m0, s56                                          // 0000000035F8: BEFC0038
	buffer_load_dwordx4 v32, s[20:23], 0 offen lds             // 0000000035FC: E05D1000 80050020
	s_add_i32 m0, m0, 0x3c0                                    // 000000003604: 817CFF7C 000003C0
	v_mfma_f32_16x16x128_f8f6f4 v[38:41], a[48:55], a[8:15], v[38:41]// 00000000360C: D3AD0026 1C9A1130
	ds_read_b128 a[80:83], v20 offset:9216                     // 000000003614: DBFE2400 50000014
	v_mfma_f32_16x16x128_f8f6f4 v[38:41], a[56:63], a[16:23], v[38:41]// 00000000361C: D3AD0026 1C9A2138
	buffer_load_dwordx4 v32, s[20:23], 0 offen offset:64 lds   // 000000003624: E05D1040 80050020
	s_add_i32 m0, m0, 0x3c0                                    // 00000000362C: 817CFF7C 000003C0
	v_mfma_f32_16x16x128_f8f6f4 v[38:41], a[64:71], a[24:31], v[38:41]// 000000003634: D3AD0026 1C9A3140
	ds_read_b128 a[84:87], v20 offset:10240                    // 00000000363C: DBFE2800 54000014
	v_mfma_f32_16x16x128_f8f6f4 v[38:41], a[72:79], a[32:39], v[38:41]// 000000003644: D3AD0026 1C9A4148
	buffer_load_dwordx4 v32, s[20:23], 0 offen offset:128 lds  // 00000000364C: E05D1080 80050020
	s_add_i32 m0, m0, 0x3c0                                    // 000000003654: 817CFF7C 000003C0
	buffer_load_dwordx4 v32, s[20:23], 0 offen offset:192 lds  // 00000000365C: E05D10C0 80050020
	s_add_i32 m0, m0, 0x3c0                                    // 000000003664: 817CFF7C 000003C0
	buffer_load_dwordx4 v32, s[20:23], 0 offen offset:256 lds  // 00000000366C: E05D1100 80050020
	s_add_i32 m0, m0, 0x3c0                                    // 000000003674: 817CFF7C 000003C0
	buffer_load_dwordx4 v32, s[20:23], 0 offen offset:320 lds  // 00000000367C: E05D1140 80050020
	s_add_i32 m0, m0, 0x3c0                                    // 000000003684: 817CFF7C 000003C0
	buffer_load_dwordx4 v32, s[20:23], 0 offen offset:384 lds  // 00000000368C: E05D1180 80050020
	s_add_i32 m0, m0, 0x3c0                                    // 000000003694: 817CFF7C 000003C0
	buffer_load_dwordx4 v32, s[20:23], 0 offen offset:448 lds  // 00000000369C: E05D11C0 80050020
	s_add_i32 m0, m0, 0x3c0                                    // 0000000036A4: 817CFF7C 000003C0
	buffer_load_dwordx4 v32, s[20:23], 0 offen offset:512 lds  // 0000000036AC: E05D1200 80050020
	s_add_i32 m0, m0, 0x3c0                                    // 0000000036B4: 817CFF7C 000003C0
	ds_read_b128 a[88:91], v20 offset:11264                    // 0000000036BC: DBFE2C00 58000014
	ds_read_b128 a[92:95], v20 offset:12288                    // 0000000036C4: DBFE3000 5C000014
	ds_read_b128 a[96:99], v20 offset:13312                    // 0000000036CC: DBFE3400 60000014
	ds_read_b128 a[100:103], v20 offset:14336                  // 0000000036D4: DBFE3800 64000014
	ds_read_b128 a[104:107], v20 offset:15360                  // 0000000036DC: DBFE3C00 68000014
	ds_read_b128 a[108:111], v20 offset:16384                  // 0000000036E4: DBFE4000 6C000014
	ds_read_b128 a[112:115], v20 offset:17408                  // 0000000036EC: DBFE4400 70000014
	v_add_u32_e32 v26, s77, v26                                // 0000000036F4: 6834344D
	v_add_u32_e32 v27, s77, v27                                // 0000000036F8: 6836364D
	s_waitcnt lgkmcnt(0)                                       // 0000000036FC: BF8CC07F
	v_mfma_f32_16x16x128_f8f6f4 v[42:45], a[80:87], a[0:7], 0  // 000000003700: D3AD002A 1A020150
	s_mov_b32 m0, s57                                          // 000000003708: BEFC0039
	buffer_load_dwordx4 v33, s[20:23], 0 offen lds             // 00000000370C: E05D1000 80050021
	s_add_i32 m0, m0, 0x3c0                                    // 000000003714: 817CFF7C 000003C0
	v_mfma_f32_16x16x128_f8f6f4 v[42:45], a[88:95], a[8:15], v[42:45]// 00000000371C: D3AD002A 1CAA1158
	v_mfma_f32_16x16x128_f8f6f4 v[42:45], a[96:103], a[16:23], v[42:45]// 000000003724: D3AD002A 1CAA2160
	buffer_load_dwordx4 v33, s[20:23], 0 offen offset:64 lds   // 00000000372C: E05D1040 80050021
	s_add_i32 m0, m0, 0x3c0                                    // 000000003734: 817CFF7C 000003C0
	v_mfma_f32_16x16x128_f8f6f4 v[42:45], a[104:111], a[24:31], v[42:45]// 00000000373C: D3AD002A 1CAA3168
	v_mfma_f32_16x16x128_f8f6f4 v[42:45], a[112:119], a[32:39], v[42:45]// 000000003744: D3AD002A 1CAA4170
	buffer_load_dwordx4 v33, s[20:23], 0 offen offset:128 lds  // 00000000374C: E05D1080 80050021
	s_add_i32 m0, m0, 0x3c0                                    // 000000003754: 817CFF7C 000003C0
	buffer_load_dwordx4 v33, s[20:23], 0 offen offset:192 lds  // 00000000375C: E05D10C0 80050021
	s_add_i32 m0, m0, 0x3c0                                    // 000000003764: 817CFF7C 000003C0
	buffer_load_dwordx4 v33, s[20:23], 0 offen offset:256 lds  // 00000000376C: E05D1100 80050021
	s_add_i32 m0, m0, 0x3c0                                    // 000000003774: 817CFF7C 000003C0
	buffer_load_dwordx4 v33, s[20:23], 0 offen offset:320 lds  // 00000000377C: E05D1140 80050021
	s_add_i32 m0, m0, 0x3c0                                    // 000000003784: 817CFF7C 000003C0
	buffer_load_dwordx4 v33, s[20:23], 0 offen offset:384 lds  // 00000000378C: E05D1180 80050021
	s_add_i32 m0, m0, 0x3c0                                    // 000000003794: 817CFF7C 000003C0
	buffer_load_dwordx4 v33, s[20:23], 0 offen offset:448 lds  // 00000000379C: E05D11C0 80050021
	s_add_i32 m0, m0, 0x3c0                                    // 0000000037A4: 817CFF7C 000003C0
	buffer_load_dwordx4 v33, s[20:23], 0 offen offset:512 lds  // 0000000037AC: E05D1200 80050021
	s_add_i32 m0, m0, 0x3c0                                    // 0000000037B4: 817CFF7C 000003C0
	s_nop 2                                                    // 0000000037BC: BF800002
	v_mov_b32_e32 v29, v38                                     // 0000000037C0: 7E3A0326
	v_max3_f32 v29, v38, v39, v29                              // 0000000037C4: D1D3001D 04764F26
	v_max3_f32 v29, v40, v41, v29                              // 0000000037CC: D1D3001D 04765328
	v_max3_f32 v29, v42, v43, v29                              // 0000000037D4: D1D3001D 0476572A
	v_max3_f32 v29, v44, v45, v29                              // 0000000037DC: D1D3001D 04765B2C
	v_mov_b32_e32 v28, v29                                     // 0000000037E4: 7E38031D
	v_mov_b32_e32 v29, v29                                     // 0000000037E8: 7E3A031D
	s_nop 1                                                    // 0000000037EC: BF800001
	v_permlane16_swap_b32_e32 v28, v29                         // 0000000037F0: 7E38B31D
	v_mov_b32_e32 v31, v28                                     // 0000000037F4: 7E3E031C
	v_mov_b32_e32 v30, v29                                     // 0000000037F8: 7E3C031D
	s_nop 1                                                    // 0000000037FC: BF800001
	v_permlane32_swap_b32_e32 v28, v29                         // 000000003800: 7E38B51D
	v_permlane32_swap_b32_e32 v30, v31                         // 000000003804: 7E3CB51F
	v_max3_f32 v29, v28, v29, v29                              // 000000003808: D1D3001D 04763B1C
	v_max3_f32 v29, v30, v31, v29                              // 000000003810: D1D3001D 04763F1E
	ds_write_b32 v36, v29                                      // 000000003818: D81A0000 00001D24
	s_waitcnt lgkmcnt(0)                                       // 000000003820: BF8CC07F
	s_barrier                                                  // 000000003824: BF8A0000
	ds_read_b32 v46, v37                                       // 000000003828: D86C0000 2E000025
	ds_read_b32 v47, v37 offset:256                            // 000000003830: D86C0100 2F000025
	ds_read_b32 v48, v37 offset:512                            // 000000003838: D86C0200 30000025
	ds_read_b32 v49, v37 offset:768                            // 000000003840: D86C0300 31000025
	s_waitcnt lgkmcnt(0)                                       // 000000003848: BF8CC07F
	v_max3_f32 v29, v46, v47, v29                              // 00000000384C: D1D3001D 04765F2E
	v_max3_f32 v29, v48, v49, v29                              // 000000003854: D1D3001D 04766330
	v_mov_b32_e32 v28, 0xff800000                              // 00000000385C: 7E3802FF FF800000
	v_cmp_eq_u32_e64 s[36:37], v28, v2                         // 000000003864: D0CA0024 0002051C
	v_max_f32_e32 v29, v29, v2                                 // 00000000386C: 163A051D
	v_sub_f32_e32 v18, v2, v29                                 // 000000003870: 04243B02
	v_cndmask_b32_e64 v18, v18, 0, s[36:37]                    // 000000003874: D1000012 00910112
	v_mov_b32_e32 v2, v29                                      // 00000000387C: 7E04031D
	v_mul_f32_e32 v29, s100, v29                               // 000000003880: 0A3A3A64
	v_mul_f32_e32 v18, s100, v18                               // 000000003884: 0A242464
	v_exp_f32_e32 v18, v18                                     // 000000003888: 7E244112
	s_mov_b32 s101, s100                                       // 00000000388C: BEE50064
	v_add_f32_e64 v30, 0, -v29                                 // 000000003890: D101001E 40023A80
	v_mov_b32_e32 v31, v30                                     // 000000003898: 7E3E031E
	v_pk_fma_f32 v[38:39], v[38:39], s[100:101], v[30:31]      // 00000000389C: D3B04026 1C78C926
	v_pk_fma_f32 v[40:41], v[40:41], s[100:101], v[30:31]      // 0000000038A4: D3B04028 1C78C928
	v_pk_fma_f32 v[42:43], v[42:43], s[100:101], v[30:31]      // 0000000038AC: D3B0402A 1C78C92A
	v_pk_fma_f32 v[44:45], v[44:45], s[100:101], v[30:31]      // 0000000038B4: D3B0402C 1C78C92C
	v_exp_f32_e32 v38, v38                                     // 0000000038BC: 7E4C4126
	v_exp_f32_e32 v39, v39                                     // 0000000038C0: 7E4E4127
	v_exp_f32_e32 v40, v40                                     // 0000000038C4: 7E504128
	v_exp_f32_e32 v41, v41                                     // 0000000038C8: 7E524129
	v_exp_f32_e32 v42, v42                                     // 0000000038CC: 7E54412A
	v_exp_f32_e32 v43, v43                                     // 0000000038D0: 7E56412B
	v_exp_f32_e32 v44, v44                                     // 0000000038D4: 7E58412C
	v_exp_f32_e32 v45, v45                                     // 0000000038D8: 7E5A412D
	v_mul_f32_e32 v4, v18, v4                                  // 0000000038DC: 0A080912
	v_mov_b32_e32 v28, v38                                     // 0000000038E0: 7E380326
	v_add_f32_e32 v28, v39, v28                                // 0000000038E4: 02383927
	v_add_f32_e32 v28, v40, v28                                // 0000000038E8: 02383928
	v_add_f32_e32 v28, v41, v28                                // 0000000038EC: 02383929
	v_add_f32_e32 v28, v42, v28                                // 0000000038F0: 0238392A
	v_add_f32_e32 v28, v43, v28                                // 0000000038F4: 0238392B
	v_add_f32_e32 v28, v44, v28                                // 0000000038F8: 0238392C
	v_add_f32_e32 v28, v45, v28                                // 0000000038FC: 0238392D
	v_add_f32_e32 v4, v28, v4                                  // 000000003900: 0208091C
	v_cvt_pk_fp8_f32 v38, v38, v39                             // 000000003904: D2A20026 00024F26
	v_cvt_pk_fp8_f32 v38, v40, v41 op_sel:[0,0,1]              // 00000000390C: D2A24026 00025328
	v_cvt_pk_fp8_f32 v39, v42, v43                             // 000000003914: D2A20027 0002572A
	v_cvt_pk_fp8_f32 v39, v44, v45 op_sel:[0,0,1]              // 00000000391C: D2A24027 00025B2C
	s_nop 0                                                    // 000000003924: BF800000
	v_permlane16_swap_b32_e32 v38, v39                         // 000000003928: 7E4CB327
	ds_write_b64 v34, v[38:39]                                 // 00000000392C: D89A0000 00002622
	s_waitcnt lgkmcnt(0)                                       // 000000003934: BF8CC07F
	s_barrier                                                  // 000000003938: BF8A0000
	ds_read_b64 v[38:39], v35                                  // 00000000393C: D8EC0000 26000023
	ds_read_b64 v[40:41], v35 offset:256                       // 000000003944: D8EC0100 28000023
	ds_read_b64 v[42:43], v35 offset:1024                      // 00000000394C: D8EC0400 2A000023
	ds_read_b64 v[44:45], v35 offset:1280                      // 000000003954: D8EC0500 2C000023
	v_mul_f32_e32 v74, v18, v74                                // 00000000395C: 0A949512
	v_mul_f32_e32 v75, v18, v75                                // 000000003960: 0A969712
	v_mul_f32_e32 v76, v18, v76                                // 000000003964: 0A989912
	v_mul_f32_e32 v77, v18, v77                                // 000000003968: 0A9A9B12
	v_mul_f32_e32 v78, v18, v78                                // 00000000396C: 0A9C9D12
	v_mul_f32_e32 v79, v18, v79                                // 000000003970: 0A9E9F12
	v_mul_f32_e32 v80, v18, v80                                // 000000003974: 0AA0A112
	v_mul_f32_e32 v81, v18, v81                                // 000000003978: 0AA2A312
	v_mul_f32_e32 v82, v18, v82                                // 00000000397C: 0AA4A512
	v_mul_f32_e32 v83, v18, v83                                // 000000003980: 0AA6A712
	v_mul_f32_e32 v84, v18, v84                                // 000000003984: 0AA8A912
	v_mul_f32_e32 v85, v18, v85                                // 000000003988: 0AAAAB12
	v_mul_f32_e32 v86, v18, v86                                // 00000000398C: 0AACAD12
	v_mul_f32_e32 v87, v18, v87                                // 000000003990: 0AAEAF12
	v_mul_f32_e32 v88, v18, v88                                // 000000003994: 0AB0B112
	v_mul_f32_e32 v89, v18, v89                                // 000000003998: 0AB2B312
	v_mul_f32_e32 v90, v18, v90                                // 00000000399C: 0AB4B512
	v_mul_f32_e32 v91, v18, v91                                // 0000000039A0: 0AB6B712
	v_mul_f32_e32 v92, v18, v92                                // 0000000039A4: 0AB8B912
	v_mul_f32_e32 v93, v18, v93                                // 0000000039A8: 0ABABB12
	v_mul_f32_e32 v94, v18, v94                                // 0000000039AC: 0ABCBD12
	v_mul_f32_e32 v95, v18, v95                                // 0000000039B0: 0ABEBF12
	v_mul_f32_e32 v96, v18, v96                                // 0000000039B4: 0AC0C112
	v_mul_f32_e32 v97, v18, v97                                // 0000000039B8: 0AC2C312
	v_mul_f32_e32 v98, v18, v98                                // 0000000039BC: 0AC4C512
	v_mul_f32_e32 v99, v18, v99                                // 0000000039C0: 0AC6C712
	v_mul_f32_e32 v100, v18, v100                              // 0000000039C4: 0AC8C912
	v_mul_f32_e32 v101, v18, v101                              // 0000000039C8: 0ACACB12
	v_mul_f32_e32 v102, v18, v102                              // 0000000039CC: 0ACCCD12
	v_mul_f32_e32 v103, v18, v103                              // 0000000039D0: 0ACECF12
	v_mul_f32_e32 v104, v18, v104                              // 0000000039D4: 0AD0D112
	v_mul_f32_e32 v105, v18, v105                              // 0000000039D8: 0AD2D312
	s_waitcnt lgkmcnt(0)                                       // 0000000039DC: BF8CC07F
	s_waitcnt vmcnt(20)                                        // 0000000039E0: BF8C4F74
	s_barrier                                                  // 0000000039E4: BF8A0000
	v_mfma_f32_16x16x128_f8f6f4 v[74:77], a[120:127], v[38:45], v[74:77]// 0000000039E8: D3AD004A 0D2A4D78
	v_mfma_f32_16x16x128_f8f6f4 v[78:81], a[128:135], v[38:45], v[78:81]// 0000000039F0: D3AD004E 0D3A4D80
	ds_read_b64_tr_b8 a[128:129], v10 offset:16                // 0000000039F8: DBC40010 8000000A
	ds_read_b64_tr_b8 a[130:131], v11 offset:16                // 000000003A00: DBC40010 8200000B
	ds_read_b64_tr_b8 a[132:133], v10 offset:36880             // 000000003A08: DBC49010 8400000A
	ds_read_b64_tr_b8 a[134:135], v11 offset:36880             // 000000003A10: DBC49010 8600000B
	v_mfma_f32_16x16x128_f8f6f4 v[82:85], a[136:143], v[38:45], v[82:85]// 000000003A18: D3AD0052 0D4A4D88
	v_mfma_f32_16x16x128_f8f6f4 v[86:89], a[144:151], v[38:45], v[86:89]// 000000003A20: D3AD0056 0D5A4D90
	ds_read_b64_tr_b8 a[144:145], v12 offset:16                // 000000003A28: DBC40010 9000000C
	ds_read_b64_tr_b8 a[146:147], v13 offset:16                // 000000003A30: DBC40010 9200000D
	ds_read_b64_tr_b8 a[148:149], v12 offset:36880             // 000000003A38: DBC49010 9400000C
	ds_read_b64_tr_b8 a[150:151], v13 offset:36880             // 000000003A40: DBC49010 9600000D
	v_mfma_f32_16x16x128_f8f6f4 v[90:93], a[152:159], v[38:45], v[90:93]// 000000003A48: D3AD005A 0D6A4D98
	v_mfma_f32_16x16x128_f8f6f4 v[94:97], a[160:167], v[38:45], v[94:97]// 000000003A50: D3AD005E 0D7A4DA0
	ds_read_b64_tr_b8 a[160:161], v10 offset:1040              // 000000003A58: DBC40410 A000000A
	ds_read_b64_tr_b8 a[162:163], v11 offset:1040              // 000000003A60: DBC40410 A200000B
	ds_read_b64_tr_b8 a[164:165], v10 offset:37904             // 000000003A68: DBC49410 A400000A
	ds_read_b64_tr_b8 a[166:167], v11 offset:37904             // 000000003A70: DBC49410 A600000B
	v_mfma_f32_16x16x128_f8f6f4 v[98:101], a[168:175], v[38:45], v[98:101]// 000000003A78: D3AD0062 0D8A4DA8
	v_mfma_f32_16x16x128_f8f6f4 v[102:105], a[176:183], v[38:45], v[102:105]// 000000003A80: D3AD0066 0D9A4DB0
	ds_read_b64_tr_b8 a[176:177], v12 offset:1040              // 000000003A88: DBC40410 B000000C
	ds_read_b64_tr_b8 a[178:179], v13 offset:1040              // 000000003A90: DBC40410 B200000D
	ds_read_b64_tr_b8 a[180:181], v12 offset:37904             // 000000003A98: DBC49410 B400000C
	ds_read_b64_tr_b8 a[182:183], v13 offset:37904             // 000000003AA0: DBC49410 B600000D
	ds_read_b64_tr_b8 a[120:121], v10                          // 000000003AA8: DBC40000 7800000A
	ds_read_b64_tr_b8 a[122:123], v11                          // 000000003AB0: DBC40000 7A00000B
	ds_read_b64_tr_b8 a[124:125], v10 offset:36864             // 000000003AB8: DBC49000 7C00000A
	ds_read_b64_tr_b8 a[126:127], v11 offset:36864             // 000000003AC0: DBC49000 7E00000B
	ds_read_b64_tr_b8 a[136:137], v12                          // 000000003AC8: DBC40000 8800000C
	ds_read_b64_tr_b8 a[138:139], v13                          // 000000003AD0: DBC40000 8A00000D
	ds_read_b64_tr_b8 a[140:141], v12 offset:36864             // 000000003AD8: DBC49000 8C00000C
	ds_read_b64_tr_b8 a[142:143], v13 offset:36864             // 000000003AE0: DBC49000 8E00000D
	ds_read_b64_tr_b8 a[152:153], v10 offset:1024              // 000000003AE8: DBC40400 9800000A
	ds_read_b64_tr_b8 a[154:155], v11 offset:1024              // 000000003AF0: DBC40400 9A00000B
	ds_read_b64_tr_b8 a[156:157], v10 offset:37888             // 000000003AF8: DBC49400 9C00000A
	ds_read_b64_tr_b8 a[158:159], v11 offset:37888             // 000000003B00: DBC49400 9E00000B
	ds_read_b64_tr_b8 a[168:169], v12 offset:1024              // 000000003B08: DBC40400 A800000C
	ds_read_b64_tr_b8 a[170:171], v13 offset:1024              // 000000003B10: DBC40400 AA00000D
	ds_read_b64_tr_b8 a[172:173], v12 offset:37888             // 000000003B18: DBC49400 AC00000C
	ds_read_b64_tr_b8 a[174:175], v13 offset:37888             // 000000003B20: DBC49400 AE00000D
	s_waitcnt lgkmcnt(0)                                       // 000000003B28: BF8CC07F
	ds_read_b128 a[44:47], v21 offset:1024                     // 000000003B2C: DBFE0400 2C000015
	ds_read_b128 a[52:55], v21 offset:3072                     // 000000003B34: DBFE0C00 34000015
	ds_read_b128 a[60:63], v21 offset:5120                     // 000000003B3C: DBFE1400 3C000015
	ds_read_b128 a[68:71], v21 offset:7168                     // 000000003B44: DBFE1C00 44000015
	ds_read_b128 a[40:43], v21                                 // 000000003B4C: DBFE0000 28000015
	ds_read_b128 a[48:51], v21 offset:2048                     // 000000003B54: DBFE0800 30000015
	ds_read_b128 a[56:59], v21 offset:4096                     // 000000003B5C: DBFE1000 38000015
	ds_read_b128 a[64:67], v21 offset:6144                     // 000000003B64: DBFE1800 40000015
	ds_read_b128 a[72:75], v21 offset:8192                     // 000000003B6C: DBFE2000 48000015
	s_addk_i32 s74, 0x1                                        // 000000003B74: B74A0001
	s_cmp_lt_i32 s74, s75                                      // 000000003B78: BF044B4A
	s_cbranch_scc0 label_1784                                  // 000000003B7C: BF840001
	s_branch label_0C08                                        // 000000003B80: BF82FD21

0000000000003b84 <label_1784>:
	s_nop 0                                                    // 000000003B84: BF800000
	s_nop 0                                                    // 000000003B88: BF800000
	s_branch label_230C                                        // 000000003B8C: BF8202DF

0000000000003b90 <label_1790>:
	s_waitcnt lgkmcnt(4)                                       // 000000003B90: BF8CC47F
	v_mfma_f32_16x16x128_f8f6f4 v[38:41], a[40:47], a[0:7], 0  // 000000003B94: D3AD0026 1A020128
	v_mul_u32_u24_e64 v32, v22, s72                            // 000000003B9C: D1080020 00009116
	v_mul_u32_u24_e64 v33, v23, s72                            // 000000003BA4: D1080021 00009117
	v_add_u32_e32 v32, v32, v1                                 // 000000003BAC: 68400320
	v_add_u32_e32 v33, v33, v1                                 // 000000003BB0: 68420321
	buffer_load_dword v22, v26, s[24:27], 0 offen              // 000000003BB4: E0501000 8006161A
	buffer_load_dword v23, v27, s[24:27], 0 offen              // 000000003BBC: E0501000 8006171B
	ds_read_b128 a[80:83], v21 offset:9216                     // 000000003BC4: DBFE2400 50000015
	v_mfma_f32_16x16x128_f8f6f4 v[38:41], a[48:55], a[8:15], v[38:41]// 000000003BCC: D3AD0026 1C9A1130
	s_mov_b32 m0, s58                                          // 000000003BD4: BEFC003A
	buffer_load_dwordx4 v32, s[20:23], 0 offen lds             // 000000003BD8: E05D1000 80050020
	s_add_i32 m0, m0, 0x3c0                                    // 000000003BE0: 817CFF7C 000003C0
	v_mfma_f32_16x16x128_f8f6f4 v[38:41], a[56:63], a[16:23], v[38:41]// 000000003BE8: D3AD0026 1C9A2138
	ds_read_b128 a[84:87], v21 offset:10240                    // 000000003BF0: DBFE2800 54000015
	v_mfma_f32_16x16x128_f8f6f4 v[38:41], a[64:71], a[24:31], v[38:41]// 000000003BF8: D3AD0026 1C9A3140
	buffer_load_dwordx4 v32, s[20:23], 0 offen offset:64 lds   // 000000003C00: E05D1040 80050020
	s_add_i32 m0, m0, 0x3c0                                    // 000000003C08: 817CFF7C 000003C0
	v_mfma_f32_16x16x128_f8f6f4 v[38:41], a[72:79], a[32:39], v[38:41]// 000000003C10: D3AD0026 1C9A4148
	ds_read_b128 a[88:91], v21 offset:11264                    // 000000003C18: DBFE2C00 58000015
	buffer_load_dwordx4 v32, s[20:23], 0 offen offset:128 lds  // 000000003C20: E05D1080 80050020
	s_add_i32 m0, m0, 0x3c0                                    // 000000003C28: 817CFF7C 000003C0
	buffer_load_dwordx4 v32, s[20:23], 0 offen offset:192 lds  // 000000003C30: E05D10C0 80050020
	s_add_i32 m0, m0, 0x3c0                                    // 000000003C38: 817CFF7C 000003C0
	buffer_load_dwordx4 v32, s[20:23], 0 offen offset:256 lds  // 000000003C40: E05D1100 80050020
	s_add_i32 m0, m0, 0x3c0                                    // 000000003C48: 817CFF7C 000003C0
	buffer_load_dwordx4 v32, s[20:23], 0 offen offset:320 lds  // 000000003C50: E05D1140 80050020
	s_add_i32 m0, m0, 0x3c0                                    // 000000003C58: 817CFF7C 000003C0
	buffer_load_dwordx4 v32, s[20:23], 0 offen offset:384 lds  // 000000003C60: E05D1180 80050020
	s_add_i32 m0, m0, 0x3c0                                    // 000000003C68: 817CFF7C 000003C0
	buffer_load_dwordx4 v32, s[20:23], 0 offen offset:448 lds  // 000000003C70: E05D11C0 80050020
	s_add_i32 m0, m0, 0x3c0                                    // 000000003C78: 817CFF7C 000003C0
	buffer_load_dwordx4 v32, s[20:23], 0 offen offset:512 lds  // 000000003C80: E05D1200 80050020
	s_add_i32 m0, m0, 0x3c0                                    // 000000003C88: 817CFF7C 000003C0
	ds_read_b128 a[92:95], v21 offset:12288                    // 000000003C90: DBFE3000 5C000015
	ds_read_b128 a[96:99], v21 offset:13312                    // 000000003C98: DBFE3400 60000015
	ds_read_b128 a[100:103], v21 offset:14336                  // 000000003CA0: DBFE3800 64000015
	ds_read_b128 a[104:107], v21 offset:15360                  // 000000003CA8: DBFE3C00 68000015
	ds_read_b128 a[108:111], v21 offset:16384                  // 000000003CB0: DBFE4000 6C000015
	ds_read_b128 a[112:115], v21 offset:17408                  // 000000003CB8: DBFE4400 70000015
	v_add_u32_e32 v26, s77, v26                                // 000000003CC0: 6834344D
	v_add_u32_e32 v27, s77, v27                                // 000000003CC4: 6836364D
	s_waitcnt lgkmcnt(0)                                       // 000000003CC8: BF8CC07F
	v_mfma_f32_16x16x128_f8f6f4 v[42:45], a[80:87], a[0:7], 0  // 000000003CCC: D3AD002A 1A020150
	v_mfma_f32_16x16x128_f8f6f4 v[42:45], a[88:95], a[8:15], v[42:45]// 000000003CD4: D3AD002A 1CAA1158
	s_mov_b32 m0, s59                                          // 000000003CDC: BEFC003B
	buffer_load_dwordx4 v33, s[20:23], 0 offen lds             // 000000003CE0: E05D1000 80050021
	s_add_i32 m0, m0, 0x3c0                                    // 000000003CE8: 817CFF7C 000003C0
	v_mfma_f32_16x16x128_f8f6f4 v[42:45], a[96:103], a[16:23], v[42:45]// 000000003CF0: D3AD002A 1CAA2160
	v_mfma_f32_16x16x128_f8f6f4 v[42:45], a[104:111], a[24:31], v[42:45]// 000000003CF8: D3AD002A 1CAA3168
	buffer_load_dwordx4 v33, s[20:23], 0 offen offset:64 lds   // 000000003D00: E05D1040 80050021
	s_add_i32 m0, m0, 0x3c0                                    // 000000003D08: 817CFF7C 000003C0
	v_mfma_f32_16x16x128_f8f6f4 v[42:45], a[112:119], a[32:39], v[42:45]// 000000003D10: D3AD002A 1CAA4170
	buffer_load_dwordx4 v33, s[20:23], 0 offen offset:128 lds  // 000000003D18: E05D1080 80050021
	s_add_i32 m0, m0, 0x3c0                                    // 000000003D20: 817CFF7C 000003C0
	buffer_load_dwordx4 v33, s[20:23], 0 offen offset:192 lds  // 000000003D28: E05D10C0 80050021
	s_add_i32 m0, m0, 0x3c0                                    // 000000003D30: 817CFF7C 000003C0
	buffer_load_dwordx4 v33, s[20:23], 0 offen offset:256 lds  // 000000003D38: E05D1100 80050021
	s_add_i32 m0, m0, 0x3c0                                    // 000000003D40: 817CFF7C 000003C0
	buffer_load_dwordx4 v33, s[20:23], 0 offen offset:320 lds  // 000000003D48: E05D1140 80050021
	s_add_i32 m0, m0, 0x3c0                                    // 000000003D50: 817CFF7C 000003C0
	buffer_load_dwordx4 v33, s[20:23], 0 offen offset:384 lds  // 000000003D58: E05D1180 80050021
	s_add_i32 m0, m0, 0x3c0                                    // 000000003D60: 817CFF7C 000003C0
	buffer_load_dwordx4 v33, s[20:23], 0 offen offset:448 lds  // 000000003D68: E05D11C0 80050021
	s_add_i32 m0, m0, 0x3c0                                    // 000000003D70: 817CFF7C 000003C0
	buffer_load_dwordx4 v33, s[20:23], 0 offen offset:512 lds  // 000000003D78: E05D1200 80050021
	s_add_i32 m0, m0, 0x3c0                                    // 000000003D80: 817CFF7C 000003C0
	s_nop 2                                                    // 000000003D88: BF800002
	v_mov_b32_e32 v29, v38                                     // 000000003D8C: 7E3A0326
	v_max3_f32 v29, v38, v39, v29                              // 000000003D90: D1D3001D 04764F26
	v_max3_f32 v29, v40, v41, v29                              // 000000003D98: D1D3001D 04765328
	v_max3_f32 v29, v42, v43, v29                              // 000000003DA0: D1D3001D 0476572A
	v_max3_f32 v29, v44, v45, v29                              // 000000003DA8: D1D3001D 04765B2C
	v_mov_b32_e32 v28, v29                                     // 000000003DB0: 7E38031D
	v_mov_b32_e32 v29, v29                                     // 000000003DB4: 7E3A031D
	s_nop 1                                                    // 000000003DB8: BF800001
	v_permlane16_swap_b32_e32 v28, v29                         // 000000003DBC: 7E38B31D
	v_mov_b32_e32 v31, v28                                     // 000000003DC0: 7E3E031C
	v_mov_b32_e32 v30, v29                                     // 000000003DC4: 7E3C031D
	s_nop 1                                                    // 000000003DC8: BF800001
	v_permlane32_swap_b32_e32 v28, v29                         // 000000003DCC: 7E38B51D
	v_permlane32_swap_b32_e32 v30, v31                         // 000000003DD0: 7E3CB51F
	v_max3_f32 v29, v28, v29, v29                              // 000000003DD4: D1D3001D 04763B1C
	v_max3_f32 v29, v30, v31, v29                              // 000000003DDC: D1D3001D 04763F1E
	ds_write_b32 v36, v29                                      // 000000003DE4: D81A0000 00001D24
	s_waitcnt lgkmcnt(0)                                       // 000000003DEC: BF8CC07F
	s_barrier                                                  // 000000003DF0: BF8A0000
	ds_read_b32 v46, v37                                       // 000000003DF4: D86C0000 2E000025
	ds_read_b32 v47, v37 offset:256                            // 000000003DFC: D86C0100 2F000025
	ds_read_b32 v48, v37 offset:512                            // 000000003E04: D86C0200 30000025
	ds_read_b32 v49, v37 offset:768                            // 000000003E0C: D86C0300 31000025
	s_waitcnt lgkmcnt(0)                                       // 000000003E14: BF8CC07F
	v_max3_f32 v29, v46, v47, v29                              // 000000003E18: D1D3001D 04765F2E
	v_max3_f32 v29, v48, v49, v29                              // 000000003E20: D1D3001D 04766330
	v_mov_b32_e32 v28, 0xff800000                              // 000000003E28: 7E3802FF FF800000
	v_cmp_eq_u32_e64 s[36:37], v28, v2                         // 000000003E30: D0CA0024 0002051C
	v_max_f32_e32 v29, v29, v2                                 // 000000003E38: 163A051D
	v_sub_f32_e32 v18, v2, v29                                 // 000000003E3C: 04243B02
	v_cndmask_b32_e64 v18, v18, 0, s[36:37]                    // 000000003E40: D1000012 00910112
	v_mov_b32_e32 v2, v29                                      // 000000003E48: 7E04031D
	v_mul_f32_e32 v29, s100, v29                               // 000000003E4C: 0A3A3A64
	v_mul_f32_e32 v18, s100, v18                               // 000000003E50: 0A242464
	v_exp_f32_e32 v18, v18                                     // 000000003E54: 7E244112
	s_mov_b32 s101, s100                                       // 000000003E58: BEE50064
	v_add_f32_e64 v30, 0, -v29                                 // 000000003E5C: D101001E 40023A80
	v_mov_b32_e32 v31, v30                                     // 000000003E64: 7E3E031E
	v_pk_fma_f32 v[38:39], v[38:39], s[100:101], v[30:31]      // 000000003E68: D3B04026 1C78C926
	v_pk_fma_f32 v[40:41], v[40:41], s[100:101], v[30:31]      // 000000003E70: D3B04028 1C78C928
	v_pk_fma_f32 v[42:43], v[42:43], s[100:101], v[30:31]      // 000000003E78: D3B0402A 1C78C92A
	v_pk_fma_f32 v[44:45], v[44:45], s[100:101], v[30:31]      // 000000003E80: D3B0402C 1C78C92C
	v_exp_f32_e32 v38, v38                                     // 000000003E88: 7E4C4126
	v_exp_f32_e32 v39, v39                                     // 000000003E8C: 7E4E4127
	v_exp_f32_e32 v40, v40                                     // 000000003E90: 7E504128
	v_exp_f32_e32 v41, v41                                     // 000000003E94: 7E524129
	v_exp_f32_e32 v42, v42                                     // 000000003E98: 7E54412A
	v_exp_f32_e32 v43, v43                                     // 000000003E9C: 7E56412B
	v_exp_f32_e32 v44, v44                                     // 000000003EA0: 7E58412C
	v_exp_f32_e32 v45, v45                                     // 000000003EA4: 7E5A412D
	v_mul_f32_e32 v4, v18, v4                                  // 000000003EA8: 0A080912
	v_mov_b32_e32 v28, v38                                     // 000000003EAC: 7E380326
	v_add_f32_e32 v28, v39, v28                                // 000000003EB0: 02383927
	v_add_f32_e32 v28, v40, v28                                // 000000003EB4: 02383928
	v_add_f32_e32 v28, v41, v28                                // 000000003EB8: 02383929
	v_add_f32_e32 v28, v42, v28                                // 000000003EBC: 0238392A
	v_add_f32_e32 v28, v43, v28                                // 000000003EC0: 0238392B
	v_add_f32_e32 v28, v44, v28                                // 000000003EC4: 0238392C
	v_add_f32_e32 v28, v45, v28                                // 000000003EC8: 0238392D
	v_add_f32_e32 v4, v28, v4                                  // 000000003ECC: 0208091C
	v_cvt_pk_fp8_f32 v38, v38, v39                             // 000000003ED0: D2A20026 00024F26
	v_cvt_pk_fp8_f32 v38, v40, v41 op_sel:[0,0,1]              // 000000003ED8: D2A24026 00025328
	v_cvt_pk_fp8_f32 v39, v42, v43                             // 000000003EE0: D2A20027 0002572A
	v_cvt_pk_fp8_f32 v39, v44, v45 op_sel:[0,0,1]              // 000000003EE8: D2A24027 00025B2C
	s_nop 0                                                    // 000000003EF0: BF800000
	v_permlane16_swap_b32_e32 v38, v39                         // 000000003EF4: 7E4CB327
	ds_write_b64 v34, v[38:39]                                 // 000000003EF8: D89A0000 00002622
	s_waitcnt lgkmcnt(0)                                       // 000000003F00: BF8CC07F
	s_barrier                                                  // 000000003F04: BF8A0000
	ds_read_b64 v[38:39], v35                                  // 000000003F08: D8EC0000 26000023
	ds_read_b64 v[40:41], v35 offset:256                       // 000000003F10: D8EC0100 28000023
	ds_read_b64 v[42:43], v35 offset:1024                      // 000000003F18: D8EC0400 2A000023
	ds_read_b64 v[44:45], v35 offset:1280                      // 000000003F20: D8EC0500 2C000023
	v_mul_f32_e32 v74, v18, v74                                // 000000003F28: 0A949512
	v_mul_f32_e32 v75, v18, v75                                // 000000003F2C: 0A969712
	v_mul_f32_e32 v76, v18, v76                                // 000000003F30: 0A989912
	v_mul_f32_e32 v77, v18, v77                                // 000000003F34: 0A9A9B12
	v_mul_f32_e32 v78, v18, v78                                // 000000003F38: 0A9C9D12
	v_mul_f32_e32 v79, v18, v79                                // 000000003F3C: 0A9E9F12
	v_mul_f32_e32 v80, v18, v80                                // 000000003F40: 0AA0A112
	v_mul_f32_e32 v81, v18, v81                                // 000000003F44: 0AA2A312
	v_mul_f32_e32 v82, v18, v82                                // 000000003F48: 0AA4A512
	v_mul_f32_e32 v83, v18, v83                                // 000000003F4C: 0AA6A712
	v_mul_f32_e32 v84, v18, v84                                // 000000003F50: 0AA8A912
	v_mul_f32_e32 v85, v18, v85                                // 000000003F54: 0AAAAB12
	v_mul_f32_e32 v86, v18, v86                                // 000000003F58: 0AACAD12
	v_mul_f32_e32 v87, v18, v87                                // 000000003F5C: 0AAEAF12
	v_mul_f32_e32 v88, v18, v88                                // 000000003F60: 0AB0B112
	v_mul_f32_e32 v89, v18, v89                                // 000000003F64: 0AB2B312
	v_mul_f32_e32 v90, v18, v90                                // 000000003F68: 0AB4B512
	v_mul_f32_e32 v91, v18, v91                                // 000000003F6C: 0AB6B712
	v_mul_f32_e32 v92, v18, v92                                // 000000003F70: 0AB8B912
	v_mul_f32_e32 v93, v18, v93                                // 000000003F74: 0ABABB12
	v_mul_f32_e32 v94, v18, v94                                // 000000003F78: 0ABCBD12
	v_mul_f32_e32 v95, v18, v95                                // 000000003F7C: 0ABEBF12
	v_mul_f32_e32 v96, v18, v96                                // 000000003F80: 0AC0C112
	v_mul_f32_e32 v97, v18, v97                                // 000000003F84: 0AC2C312
	v_mul_f32_e32 v98, v18, v98                                // 000000003F88: 0AC4C512
	v_mul_f32_e32 v99, v18, v99                                // 000000003F8C: 0AC6C712
	v_mul_f32_e32 v100, v18, v100                              // 000000003F90: 0AC8C912
	v_mul_f32_e32 v101, v18, v101                              // 000000003F94: 0ACACB12
	v_mul_f32_e32 v102, v18, v102                              // 000000003F98: 0ACCCD12
	v_mul_f32_e32 v103, v18, v103                              // 000000003F9C: 0ACECF12
	v_mul_f32_e32 v104, v18, v104                              // 000000003FA0: 0AD0D112
	v_mul_f32_e32 v105, v18, v105                              // 000000003FA4: 0AD2D312
	s_waitcnt lgkmcnt(0)                                       // 000000003FA8: BF8CC07F
	s_waitcnt vmcnt(20)                                        // 000000003FAC: BF8C4F74
	s_barrier                                                  // 000000003FB0: BF8A0000
	v_mfma_f32_16x16x128_f8f6f4 v[74:77], a[120:127], v[38:45], v[74:77]// 000000003FB4: D3AD004A 0D2A4D78
	ds_read_b64_tr_b8 a[120:121], v6                           // 000000003FBC: DBC40000 78000006
	ds_read_b64_tr_b8 a[122:123], v7                           // 000000003FC4: DBC40000 7A000007
	ds_read_b64_tr_b8 a[124:125], v6 offset:36864              // 000000003FCC: DBC49000 7C000006
	ds_read_b64_tr_b8 a[126:127], v7 offset:36864              // 000000003FD4: DBC49000 7E000007
	v_mfma_f32_16x16x128_f8f6f4 v[78:81], a[128:135], v[38:45], v[78:81]// 000000003FDC: D3AD004E 0D3A4D80
	v_mfma_f32_16x16x128_f8f6f4 v[82:85], a[136:143], v[38:45], v[82:85]// 000000003FE4: D3AD0052 0D4A4D88
	ds_read_b64_tr_b8 a[136:137], v8                           // 000000003FEC: DBC40000 88000008
	ds_read_b64_tr_b8 a[138:139], v9                           // 000000003FF4: DBC40000 8A000009
	ds_read_b64_tr_b8 a[140:141], v8 offset:36864              // 000000003FFC: DBC49000 8C000008
	ds_read_b64_tr_b8 a[142:143], v9 offset:36864              // 000000004004: DBC49000 8E000009
	v_mfma_f32_16x16x128_f8f6f4 v[86:89], a[144:151], v[38:45], v[86:89]// 00000000400C: D3AD0056 0D5A4D90
	v_mfma_f32_16x16x128_f8f6f4 v[90:93], a[152:159], v[38:45], v[90:93]// 000000004014: D3AD005A 0D6A4D98
	ds_read_b64_tr_b8 a[152:153], v6 offset:1024               // 00000000401C: DBC40400 98000006
	ds_read_b64_tr_b8 a[154:155], v7 offset:1024               // 000000004024: DBC40400 9A000007
	ds_read_b64_tr_b8 a[156:157], v6 offset:37888              // 00000000402C: DBC49400 9C000006
	ds_read_b64_tr_b8 a[158:159], v7 offset:37888              // 000000004034: DBC49400 9E000007
	v_mfma_f32_16x16x128_f8f6f4 v[94:97], a[160:167], v[38:45], v[94:97]// 00000000403C: D3AD005E 0D7A4DA0
	v_mfma_f32_16x16x128_f8f6f4 v[98:101], a[168:175], v[38:45], v[98:101]// 000000004044: D3AD0062 0D8A4DA8
	ds_read_b64_tr_b8 a[168:169], v8 offset:1024               // 00000000404C: DBC40400 A8000008
	ds_read_b64_tr_b8 a[170:171], v9 offset:1024               // 000000004054: DBC40400 AA000009
	ds_read_b64_tr_b8 a[172:173], v8 offset:37888              // 00000000405C: DBC49400 AC000008
	ds_read_b64_tr_b8 a[174:175], v9 offset:37888              // 000000004064: DBC49400 AE000009
	v_mfma_f32_16x16x128_f8f6f4 v[102:105], a[176:183], v[38:45], v[102:105]// 00000000406C: D3AD0066 0D9A4DB0
	ds_read_b64_tr_b8 a[128:129], v6 offset:16                 // 000000004074: DBC40010 80000006
	ds_read_b64_tr_b8 a[130:131], v7 offset:16                 // 00000000407C: DBC40010 82000007
	ds_read_b64_tr_b8 a[132:133], v6 offset:36880              // 000000004084: DBC49010 84000006
	ds_read_b64_tr_b8 a[134:135], v7 offset:36880              // 00000000408C: DBC49010 86000007
	ds_read_b64_tr_b8 a[144:145], v8 offset:16                 // 000000004094: DBC40010 90000008
	ds_read_b64_tr_b8 a[146:147], v9 offset:16                 // 00000000409C: DBC40010 92000009
	ds_read_b64_tr_b8 a[148:149], v8 offset:36880              // 0000000040A4: DBC49010 94000008
	ds_read_b64_tr_b8 a[150:151], v9 offset:36880              // 0000000040AC: DBC49010 96000009
	ds_read_b64_tr_b8 a[160:161], v6 offset:1040               // 0000000040B4: DBC40410 A0000006
	ds_read_b64_tr_b8 a[162:163], v7 offset:1040               // 0000000040BC: DBC40410 A2000007
	ds_read_b64_tr_b8 a[164:165], v6 offset:37904              // 0000000040C4: DBC49410 A4000006
	ds_read_b64_tr_b8 a[166:167], v7 offset:37904              // 0000000040CC: DBC49410 A6000007
	ds_read_b64_tr_b8 a[176:177], v8 offset:1040               // 0000000040D4: DBC40410 B0000008
	ds_read_b64_tr_b8 a[178:179], v9 offset:1040               // 0000000040DC: DBC40410 B2000009
	ds_read_b64_tr_b8 a[180:181], v8 offset:37904              // 0000000040E4: DBC49410 B4000008
	ds_read_b64_tr_b8 a[182:183], v9 offset:37904              // 0000000040EC: DBC49410 B6000009
	s_waitcnt lgkmcnt(0)                                       // 0000000040F4: BF8CC07F
	ds_read_b128 a[40:43], v20                                 // 0000000040F8: DBFE0000 28000014
	ds_read_b128 a[48:51], v20 offset:2048                     // 000000004100: DBFE0800 30000014
	ds_read_b128 a[56:59], v20 offset:4096                     // 000000004108: DBFE1000 38000014
	ds_read_b128 a[64:67], v20 offset:6144                     // 000000004110: DBFE1800 40000014
	ds_read_b128 a[72:75], v20 offset:8192                     // 000000004118: DBFE2000 48000014
	ds_read_b128 a[44:47], v20 offset:1024                     // 000000004120: DBFE0400 2C000014
	ds_read_b128 a[52:55], v20 offset:3072                     // 000000004128: DBFE0C00 34000014
	ds_read_b128 a[60:63], v20 offset:5120                     // 000000004130: DBFE1400 3C000014
	ds_read_b128 a[68:71], v20 offset:7168                     // 000000004138: DBFE1C00 44000014
	s_addk_i32 s74, 0x1                                        // 000000004140: B74A0001
	s_cmp_lt_i32 s74, s75                                      // 000000004144: BF044B4A
	s_cbranch_scc0 label_1784                                  // 000000004148: BF84FE8E
	s_waitcnt lgkmcnt(4)                                       // 00000000414C: BF8CC47F
	v_mfma_f32_16x16x128_f8f6f4 v[38:41], a[40:47], a[0:7], 0  // 000000004150: D3AD0026 1A020128
	v_mul_u32_u24_e64 v32, v24, s72                            // 000000004158: D1080020 00009118
	v_mul_u32_u24_e64 v33, v25, s72                            // 000000004160: D1080021 00009119
	v_add_u32_e32 v32, v32, v1                                 // 000000004168: 68400320
	v_add_u32_e32 v33, v33, v1                                 // 00000000416C: 68420321
	buffer_load_dword v24, v26, s[24:27], 0 offen              // 000000004170: E0501000 8006181A
	buffer_load_dword v25, v27, s[24:27], 0 offen              // 000000004178: E0501000 8006191B
	ds_read_b128 a[80:83], v20 offset:9216                     // 000000004180: DBFE2400 50000014
	v_mfma_f32_16x16x128_f8f6f4 v[38:41], a[48:55], a[8:15], v[38:41]// 000000004188: D3AD0026 1C9A1130
	s_mov_b32 m0, s56                                          // 000000004190: BEFC0038
	buffer_load_dwordx4 v32, s[20:23], 0 offen lds             // 000000004194: E05D1000 80050020
	s_add_i32 m0, m0, 0x3c0                                    // 00000000419C: 817CFF7C 000003C0
	v_mfma_f32_16x16x128_f8f6f4 v[38:41], a[56:63], a[16:23], v[38:41]// 0000000041A4: D3AD0026 1C9A2138
	ds_read_b128 a[84:87], v20 offset:10240                    // 0000000041AC: DBFE2800 54000014
	v_mfma_f32_16x16x128_f8f6f4 v[38:41], a[64:71], a[24:31], v[38:41]// 0000000041B4: D3AD0026 1C9A3140
	buffer_load_dwordx4 v32, s[20:23], 0 offen offset:64 lds   // 0000000041BC: E05D1040 80050020
	s_add_i32 m0, m0, 0x3c0                                    // 0000000041C4: 817CFF7C 000003C0
	v_mfma_f32_16x16x128_f8f6f4 v[38:41], a[72:79], a[32:39], v[38:41]// 0000000041CC: D3AD0026 1C9A4148
	ds_read_b128 a[88:91], v20 offset:11264                    // 0000000041D4: DBFE2C00 58000014
	buffer_load_dwordx4 v32, s[20:23], 0 offen offset:128 lds  // 0000000041DC: E05D1080 80050020
	s_add_i32 m0, m0, 0x3c0                                    // 0000000041E4: 817CFF7C 000003C0
	buffer_load_dwordx4 v32, s[20:23], 0 offen offset:192 lds  // 0000000041EC: E05D10C0 80050020
	s_add_i32 m0, m0, 0x3c0                                    // 0000000041F4: 817CFF7C 000003C0
	buffer_load_dwordx4 v32, s[20:23], 0 offen offset:256 lds  // 0000000041FC: E05D1100 80050020
	s_add_i32 m0, m0, 0x3c0                                    // 000000004204: 817CFF7C 000003C0
	buffer_load_dwordx4 v32, s[20:23], 0 offen offset:320 lds  // 00000000420C: E05D1140 80050020
	s_add_i32 m0, m0, 0x3c0                                    // 000000004214: 817CFF7C 000003C0
	buffer_load_dwordx4 v32, s[20:23], 0 offen offset:384 lds  // 00000000421C: E05D1180 80050020
	s_add_i32 m0, m0, 0x3c0                                    // 000000004224: 817CFF7C 000003C0
	buffer_load_dwordx4 v32, s[20:23], 0 offen offset:448 lds  // 00000000422C: E05D11C0 80050020
	s_add_i32 m0, m0, 0x3c0                                    // 000000004234: 817CFF7C 000003C0
	buffer_load_dwordx4 v32, s[20:23], 0 offen offset:512 lds  // 00000000423C: E05D1200 80050020
	s_add_i32 m0, m0, 0x3c0                                    // 000000004244: 817CFF7C 000003C0
	ds_read_b128 a[92:95], v20 offset:12288                    // 00000000424C: DBFE3000 5C000014
	ds_read_b128 a[96:99], v20 offset:13312                    // 000000004254: DBFE3400 60000014
	ds_read_b128 a[100:103], v20 offset:14336                  // 00000000425C: DBFE3800 64000014
	ds_read_b128 a[104:107], v20 offset:15360                  // 000000004264: DBFE3C00 68000014
	ds_read_b128 a[108:111], v20 offset:16384                  // 00000000426C: DBFE4000 6C000014
	ds_read_b128 a[112:115], v20 offset:17408                  // 000000004274: DBFE4400 70000014
	v_add_u32_e32 v26, s77, v26                                // 00000000427C: 6834344D
	v_add_u32_e32 v27, s77, v27                                // 000000004280: 6836364D
	s_waitcnt lgkmcnt(0)                                       // 000000004284: BF8CC07F
	v_mfma_f32_16x16x128_f8f6f4 v[42:45], a[80:87], a[0:7], 0  // 000000004288: D3AD002A 1A020150
	v_mfma_f32_16x16x128_f8f6f4 v[42:45], a[88:95], a[8:15], v[42:45]// 000000004290: D3AD002A 1CAA1158
	s_mov_b32 m0, s57                                          // 000000004298: BEFC0039
	buffer_load_dwordx4 v33, s[20:23], 0 offen lds             // 00000000429C: E05D1000 80050021
	s_add_i32 m0, m0, 0x3c0                                    // 0000000042A4: 817CFF7C 000003C0
	v_mfma_f32_16x16x128_f8f6f4 v[42:45], a[96:103], a[16:23], v[42:45]// 0000000042AC: D3AD002A 1CAA2160
	v_mfma_f32_16x16x128_f8f6f4 v[42:45], a[104:111], a[24:31], v[42:45]// 0000000042B4: D3AD002A 1CAA3168
	buffer_load_dwordx4 v33, s[20:23], 0 offen offset:64 lds   // 0000000042BC: E05D1040 80050021
	s_add_i32 m0, m0, 0x3c0                                    // 0000000042C4: 817CFF7C 000003C0
	v_mfma_f32_16x16x128_f8f6f4 v[42:45], a[112:119], a[32:39], v[42:45]// 0000000042CC: D3AD002A 1CAA4170
	buffer_load_dwordx4 v33, s[20:23], 0 offen offset:128 lds  // 0000000042D4: E05D1080 80050021
	s_add_i32 m0, m0, 0x3c0                                    // 0000000042DC: 817CFF7C 000003C0
	buffer_load_dwordx4 v33, s[20:23], 0 offen offset:192 lds  // 0000000042E4: E05D10C0 80050021
	s_add_i32 m0, m0, 0x3c0                                    // 0000000042EC: 817CFF7C 000003C0
	buffer_load_dwordx4 v33, s[20:23], 0 offen offset:256 lds  // 0000000042F4: E05D1100 80050021
	s_add_i32 m0, m0, 0x3c0                                    // 0000000042FC: 817CFF7C 000003C0
	buffer_load_dwordx4 v33, s[20:23], 0 offen offset:320 lds  // 000000004304: E05D1140 80050021
	s_add_i32 m0, m0, 0x3c0                                    // 00000000430C: 817CFF7C 000003C0
	buffer_load_dwordx4 v33, s[20:23], 0 offen offset:384 lds  // 000000004314: E05D1180 80050021
	s_add_i32 m0, m0, 0x3c0                                    // 00000000431C: 817CFF7C 000003C0
	buffer_load_dwordx4 v33, s[20:23], 0 offen offset:448 lds  // 000000004324: E05D11C0 80050021
	s_add_i32 m0, m0, 0x3c0                                    // 00000000432C: 817CFF7C 000003C0
	buffer_load_dwordx4 v33, s[20:23], 0 offen offset:512 lds  // 000000004334: E05D1200 80050021
	s_add_i32 m0, m0, 0x3c0                                    // 00000000433C: 817CFF7C 000003C0
	s_nop 2                                                    // 000000004344: BF800002
	v_mov_b32_e32 v29, v38                                     // 000000004348: 7E3A0326
	v_max3_f32 v29, v38, v39, v29                              // 00000000434C: D1D3001D 04764F26
	v_max3_f32 v29, v40, v41, v29                              // 000000004354: D1D3001D 04765328
	v_max3_f32 v29, v42, v43, v29                              // 00000000435C: D1D3001D 0476572A
	v_max3_f32 v29, v44, v45, v29                              // 000000004364: D1D3001D 04765B2C
	v_mov_b32_e32 v28, v29                                     // 00000000436C: 7E38031D
	v_mov_b32_e32 v29, v29                                     // 000000004370: 7E3A031D
	s_nop 1                                                    // 000000004374: BF800001
	v_permlane16_swap_b32_e32 v28, v29                         // 000000004378: 7E38B31D
	v_mov_b32_e32 v31, v28                                     // 00000000437C: 7E3E031C
	v_mov_b32_e32 v30, v29                                     // 000000004380: 7E3C031D
	s_nop 1                                                    // 000000004384: BF800001
	v_permlane32_swap_b32_e32 v28, v29                         // 000000004388: 7E38B51D
	v_permlane32_swap_b32_e32 v30, v31                         // 00000000438C: 7E3CB51F
	v_max3_f32 v29, v28, v29, v29                              // 000000004390: D1D3001D 04763B1C
	v_max3_f32 v29, v30, v31, v29                              // 000000004398: D1D3001D 04763F1E
	ds_write_b32 v36, v29                                      // 0000000043A0: D81A0000 00001D24
	s_waitcnt lgkmcnt(0)                                       // 0000000043A8: BF8CC07F
	s_barrier                                                  // 0000000043AC: BF8A0000
	ds_read_b32 v46, v37                                       // 0000000043B0: D86C0000 2E000025
	ds_read_b32 v47, v37 offset:256                            // 0000000043B8: D86C0100 2F000025
	ds_read_b32 v48, v37 offset:512                            // 0000000043C0: D86C0200 30000025
	ds_read_b32 v49, v37 offset:768                            // 0000000043C8: D86C0300 31000025
	s_waitcnt lgkmcnt(0)                                       // 0000000043D0: BF8CC07F
	v_max3_f32 v29, v46, v47, v29                              // 0000000043D4: D1D3001D 04765F2E
	v_max3_f32 v29, v48, v49, v29                              // 0000000043DC: D1D3001D 04766330
	v_mov_b32_e32 v28, 0xff800000                              // 0000000043E4: 7E3802FF FF800000
	v_cmp_eq_u32_e64 s[36:37], v28, v2                         // 0000000043EC: D0CA0024 0002051C
	v_max_f32_e32 v29, v29, v2                                 // 0000000043F4: 163A051D
	v_sub_f32_e32 v18, v2, v29                                 // 0000000043F8: 04243B02
	v_cndmask_b32_e64 v18, v18, 0, s[36:37]                    // 0000000043FC: D1000012 00910112
	v_mov_b32_e32 v2, v29                                      // 000000004404: 7E04031D
	v_mul_f32_e32 v29, s100, v29                               // 000000004408: 0A3A3A64
	v_mul_f32_e32 v18, s100, v18                               // 00000000440C: 0A242464
	v_exp_f32_e32 v18, v18                                     // 000000004410: 7E244112
	s_mov_b32 s101, s100                                       // 000000004414: BEE50064
	v_add_f32_e64 v30, 0, -v29                                 // 000000004418: D101001E 40023A80
	v_mov_b32_e32 v31, v30                                     // 000000004420: 7E3E031E
	v_pk_fma_f32 v[38:39], v[38:39], s[100:101], v[30:31]      // 000000004424: D3B04026 1C78C926
	v_pk_fma_f32 v[40:41], v[40:41], s[100:101], v[30:31]      // 00000000442C: D3B04028 1C78C928
	v_pk_fma_f32 v[42:43], v[42:43], s[100:101], v[30:31]      // 000000004434: D3B0402A 1C78C92A
	v_pk_fma_f32 v[44:45], v[44:45], s[100:101], v[30:31]      // 00000000443C: D3B0402C 1C78C92C
	v_exp_f32_e32 v38, v38                                     // 000000004444: 7E4C4126
	v_exp_f32_e32 v39, v39                                     // 000000004448: 7E4E4127
	v_exp_f32_e32 v40, v40                                     // 00000000444C: 7E504128
	v_exp_f32_e32 v41, v41                                     // 000000004450: 7E524129
	v_exp_f32_e32 v42, v42                                     // 000000004454: 7E54412A
	v_exp_f32_e32 v43, v43                                     // 000000004458: 7E56412B
	v_exp_f32_e32 v44, v44                                     // 00000000445C: 7E58412C
	v_exp_f32_e32 v45, v45                                     // 000000004460: 7E5A412D
	v_mul_f32_e32 v4, v18, v4                                  // 000000004464: 0A080912
	v_mov_b32_e32 v28, v38                                     // 000000004468: 7E380326
	v_add_f32_e32 v28, v39, v28                                // 00000000446C: 02383927
	v_add_f32_e32 v28, v40, v28                                // 000000004470: 02383928
	v_add_f32_e32 v28, v41, v28                                // 000000004474: 02383929
	v_add_f32_e32 v28, v42, v28                                // 000000004478: 0238392A
	v_add_f32_e32 v28, v43, v28                                // 00000000447C: 0238392B
	v_add_f32_e32 v28, v44, v28                                // 000000004480: 0238392C
	v_add_f32_e32 v28, v45, v28                                // 000000004484: 0238392D
	v_add_f32_e32 v4, v28, v4                                  // 000000004488: 0208091C
	v_cvt_pk_fp8_f32 v38, v38, v39                             // 00000000448C: D2A20026 00024F26
	v_cvt_pk_fp8_f32 v38, v40, v41 op_sel:[0,0,1]              // 000000004494: D2A24026 00025328
	v_cvt_pk_fp8_f32 v39, v42, v43                             // 00000000449C: D2A20027 0002572A
	v_cvt_pk_fp8_f32 v39, v44, v45 op_sel:[0,0,1]              // 0000000044A4: D2A24027 00025B2C
	s_nop 0                                                    // 0000000044AC: BF800000
	v_permlane16_swap_b32_e32 v38, v39                         // 0000000044B0: 7E4CB327
	ds_write_b64 v34, v[38:39]                                 // 0000000044B4: D89A0000 00002622
	s_waitcnt lgkmcnt(0)                                       // 0000000044BC: BF8CC07F
	s_barrier                                                  // 0000000044C0: BF8A0000
	ds_read_b64 v[38:39], v35                                  // 0000000044C4: D8EC0000 26000023
	ds_read_b64 v[40:41], v35 offset:256                       // 0000000044CC: D8EC0100 28000023
	ds_read_b64 v[42:43], v35 offset:1024                      // 0000000044D4: D8EC0400 2A000023
	ds_read_b64 v[44:45], v35 offset:1280                      // 0000000044DC: D8EC0500 2C000023
	v_mul_f32_e32 v74, v18, v74                                // 0000000044E4: 0A949512
	v_mul_f32_e32 v75, v18, v75                                // 0000000044E8: 0A969712
	v_mul_f32_e32 v76, v18, v76                                // 0000000044EC: 0A989912
	v_mul_f32_e32 v77, v18, v77                                // 0000000044F0: 0A9A9B12
	v_mul_f32_e32 v78, v18, v78                                // 0000000044F4: 0A9C9D12
	v_mul_f32_e32 v79, v18, v79                                // 0000000044F8: 0A9E9F12
	v_mul_f32_e32 v80, v18, v80                                // 0000000044FC: 0AA0A112
	v_mul_f32_e32 v81, v18, v81                                // 000000004500: 0AA2A312
	v_mul_f32_e32 v82, v18, v82                                // 000000004504: 0AA4A512
	v_mul_f32_e32 v83, v18, v83                                // 000000004508: 0AA6A712
	v_mul_f32_e32 v84, v18, v84                                // 00000000450C: 0AA8A912
	v_mul_f32_e32 v85, v18, v85                                // 000000004510: 0AAAAB12
	v_mul_f32_e32 v86, v18, v86                                // 000000004514: 0AACAD12
	v_mul_f32_e32 v87, v18, v87                                // 000000004518: 0AAEAF12
	v_mul_f32_e32 v88, v18, v88                                // 00000000451C: 0AB0B112
	v_mul_f32_e32 v89, v18, v89                                // 000000004520: 0AB2B312
	v_mul_f32_e32 v90, v18, v90                                // 000000004524: 0AB4B512
	v_mul_f32_e32 v91, v18, v91                                // 000000004528: 0AB6B712
	v_mul_f32_e32 v92, v18, v92                                // 00000000452C: 0AB8B912
	v_mul_f32_e32 v93, v18, v93                                // 000000004530: 0ABABB12
	v_mul_f32_e32 v94, v18, v94                                // 000000004534: 0ABCBD12
	v_mul_f32_e32 v95, v18, v95                                // 000000004538: 0ABEBF12
	v_mul_f32_e32 v96, v18, v96                                // 00000000453C: 0AC0C112
	v_mul_f32_e32 v97, v18, v97                                // 000000004540: 0AC2C312
	v_mul_f32_e32 v98, v18, v98                                // 000000004544: 0AC4C512
	v_mul_f32_e32 v99, v18, v99                                // 000000004548: 0AC6C712
	v_mul_f32_e32 v100, v18, v100                              // 00000000454C: 0AC8C912
	v_mul_f32_e32 v101, v18, v101                              // 000000004550: 0ACACB12
	v_mul_f32_e32 v102, v18, v102                              // 000000004554: 0ACCCD12
	v_mul_f32_e32 v103, v18, v103                              // 000000004558: 0ACECF12
	v_mul_f32_e32 v104, v18, v104                              // 00000000455C: 0AD0D112
	v_mul_f32_e32 v105, v18, v105                              // 000000004560: 0AD2D312
	s_waitcnt lgkmcnt(0)                                       // 000000004564: BF8CC07F
	s_waitcnt vmcnt(20)                                        // 000000004568: BF8C4F74
	s_barrier                                                  // 00000000456C: BF8A0000
	v_mfma_f32_16x16x128_f8f6f4 v[74:77], a[120:127], v[38:45], v[74:77]// 000000004570: D3AD004A 0D2A4D78
	ds_read_b64_tr_b8 a[120:121], v10                          // 000000004578: DBC40000 7800000A
	ds_read_b64_tr_b8 a[122:123], v11                          // 000000004580: DBC40000 7A00000B
	ds_read_b64_tr_b8 a[124:125], v10 offset:36864             // 000000004588: DBC49000 7C00000A
	ds_read_b64_tr_b8 a[126:127], v11 offset:36864             // 000000004590: DBC49000 7E00000B
	v_mfma_f32_16x16x128_f8f6f4 v[78:81], a[128:135], v[38:45], v[78:81]// 000000004598: D3AD004E 0D3A4D80
	v_mfma_f32_16x16x128_f8f6f4 v[82:85], a[136:143], v[38:45], v[82:85]// 0000000045A0: D3AD0052 0D4A4D88
	ds_read_b64_tr_b8 a[136:137], v12                          // 0000000045A8: DBC40000 8800000C
	ds_read_b64_tr_b8 a[138:139], v13                          // 0000000045B0: DBC40000 8A00000D
	ds_read_b64_tr_b8 a[140:141], v12 offset:36864             // 0000000045B8: DBC49000 8C00000C
	ds_read_b64_tr_b8 a[142:143], v13 offset:36864             // 0000000045C0: DBC49000 8E00000D
	v_mfma_f32_16x16x128_f8f6f4 v[86:89], a[144:151], v[38:45], v[86:89]// 0000000045C8: D3AD0056 0D5A4D90
	v_mfma_f32_16x16x128_f8f6f4 v[90:93], a[152:159], v[38:45], v[90:93]// 0000000045D0: D3AD005A 0D6A4D98
	ds_read_b64_tr_b8 a[152:153], v10 offset:1024              // 0000000045D8: DBC40400 9800000A
	ds_read_b64_tr_b8 a[154:155], v11 offset:1024              // 0000000045E0: DBC40400 9A00000B
	ds_read_b64_tr_b8 a[156:157], v10 offset:37888             // 0000000045E8: DBC49400 9C00000A
	ds_read_b64_tr_b8 a[158:159], v11 offset:37888             // 0000000045F0: DBC49400 9E00000B
	v_mfma_f32_16x16x128_f8f6f4 v[94:97], a[160:167], v[38:45], v[94:97]// 0000000045F8: D3AD005E 0D7A4DA0
	v_mfma_f32_16x16x128_f8f6f4 v[98:101], a[168:175], v[38:45], v[98:101]// 000000004600: D3AD0062 0D8A4DA8
	ds_read_b64_tr_b8 a[168:169], v12 offset:1024              // 000000004608: DBC40400 A800000C
	ds_read_b64_tr_b8 a[170:171], v13 offset:1024              // 000000004610: DBC40400 AA00000D
	ds_read_b64_tr_b8 a[172:173], v12 offset:37888             // 000000004618: DBC49400 AC00000C
	ds_read_b64_tr_b8 a[174:175], v13 offset:37888             // 000000004620: DBC49400 AE00000D
	v_mfma_f32_16x16x128_f8f6f4 v[102:105], a[176:183], v[38:45], v[102:105]// 000000004628: D3AD0066 0D9A4DB0
	ds_read_b64_tr_b8 a[128:129], v10 offset:16                // 000000004630: DBC40010 8000000A
	ds_read_b64_tr_b8 a[130:131], v11 offset:16                // 000000004638: DBC40010 8200000B
	ds_read_b64_tr_b8 a[132:133], v10 offset:36880             // 000000004640: DBC49010 8400000A
	ds_read_b64_tr_b8 a[134:135], v11 offset:36880             // 000000004648: DBC49010 8600000B
	ds_read_b64_tr_b8 a[144:145], v12 offset:16                // 000000004650: DBC40010 9000000C
	ds_read_b64_tr_b8 a[146:147], v13 offset:16                // 000000004658: DBC40010 9200000D
	ds_read_b64_tr_b8 a[148:149], v12 offset:36880             // 000000004660: DBC49010 9400000C
	ds_read_b64_tr_b8 a[150:151], v13 offset:36880             // 000000004668: DBC49010 9600000D
	ds_read_b64_tr_b8 a[160:161], v10 offset:1040              // 000000004670: DBC40410 A000000A
	ds_read_b64_tr_b8 a[162:163], v11 offset:1040              // 000000004678: DBC40410 A200000B
	ds_read_b64_tr_b8 a[164:165], v10 offset:37904             // 000000004680: DBC49410 A400000A
	ds_read_b64_tr_b8 a[166:167], v11 offset:37904             // 000000004688: DBC49410 A600000B
	ds_read_b64_tr_b8 a[176:177], v12 offset:1040              // 000000004690: DBC40410 B000000C
	ds_read_b64_tr_b8 a[178:179], v13 offset:1040              // 000000004698: DBC40410 B200000D
	ds_read_b64_tr_b8 a[180:181], v12 offset:37904             // 0000000046A0: DBC49410 B400000C
	ds_read_b64_tr_b8 a[182:183], v13 offset:37904             // 0000000046A8: DBC49410 B600000D
	s_waitcnt lgkmcnt(0)                                       // 0000000046B0: BF8CC07F
	ds_read_b128 a[40:43], v21                                 // 0000000046B4: DBFE0000 28000015
	ds_read_b128 a[48:51], v21 offset:2048                     // 0000000046BC: DBFE0800 30000015
	ds_read_b128 a[56:59], v21 offset:4096                     // 0000000046C4: DBFE1000 38000015
	ds_read_b128 a[64:67], v21 offset:6144                     // 0000000046CC: DBFE1800 40000015
	ds_read_b128 a[72:75], v21 offset:8192                     // 0000000046D4: DBFE2000 48000015
	ds_read_b128 a[44:47], v21 offset:1024                     // 0000000046DC: DBFE0400 2C000015
	ds_read_b128 a[52:55], v21 offset:3072                     // 0000000046E4: DBFE0C00 34000015
	ds_read_b128 a[60:63], v21 offset:5120                     // 0000000046EC: DBFE1400 3C000015
	ds_read_b128 a[68:71], v21 offset:7168                     // 0000000046F4: DBFE1C00 44000015
	s_addk_i32 s74, 0x1                                        // 0000000046FC: B74A0001
	s_cmp_lt_i32 s74, s75                                      // 000000004700: BF044B4A
	s_cbranch_scc0 label_1784                                  // 000000004704: BF84FD1F
	s_branch label_1790                                        // 000000004708: BF82FD21

000000000000470c <label_230C>:
	s_cmp_eq_i32 s48, 0                                        // 00000000470C: BF008030
	s_cbranch_scc1 label_2BA8                                  // 000000004710: BF850203

0000000000004714 <label_2314>:
	s_and_b32 s60, s75, 1                                      // 000000004714: 863C814B
	s_cmp_eq_i32 s60, 1                                        // 000000004718: BF00813C
	s_cbranch_scc1 label_2720                                  // 00000000471C: BF850100
	s_waitcnt lgkmcnt(0)                                       // 000000004720: BF8CC07F
	v_mfma_f32_16x16x128_f8f6f4 v[38:41], a[40:47], a[0:7], 0  // 000000004724: D3AD0026 1A020128
	ds_read_b128 a[80:83], v21 offset:9216                     // 00000000472C: DBFE2400 50000015
	v_mfma_f32_16x16x128_f8f6f4 v[38:41], a[48:55], a[8:15], v[38:41]// 000000004734: D3AD0026 1C9A1130
	ds_read_b128 a[84:87], v21 offset:10240                    // 00000000473C: DBFE2800 54000015
	v_mfma_f32_16x16x128_f8f6f4 v[38:41], a[56:63], a[16:23], v[38:41]// 000000004744: D3AD0026 1C9A2138
	ds_read_b128 a[88:91], v21 offset:11264                    // 00000000474C: DBFE2C00 58000015
	v_mfma_f32_16x16x128_f8f6f4 v[38:41], a[64:71], a[24:31], v[38:41]// 000000004754: D3AD0026 1C9A3140
	ds_read_b128 a[92:95], v21 offset:12288                    // 00000000475C: DBFE3000 5C000015
	v_mfma_f32_16x16x128_f8f6f4 v[38:41], a[72:79], a[32:39], v[38:41]// 000000004764: D3AD0026 1C9A4148
	ds_read_b128 a[96:99], v21 offset:13312                    // 00000000476C: DBFE3400 60000015
	ds_read_b128 a[100:103], v21 offset:14336                  // 000000004774: DBFE3800 64000015
	ds_read_b128 a[104:107], v21 offset:15360                  // 00000000477C: DBFE3C00 68000015
	ds_read_b128 a[108:111], v21 offset:16384                  // 000000004784: DBFE4000 6C000015
	ds_read_b128 a[112:115], v21 offset:17408                  // 00000000478C: DBFE4400 70000015
	s_waitcnt lgkmcnt(0)                                       // 000000004794: BF8CC07F
	v_mfma_f32_16x16x128_f8f6f4 v[42:45], a[80:87], a[0:7], 0  // 000000004798: D3AD002A 1A020150
	v_mfma_f32_16x16x128_f8f6f4 v[42:45], a[88:95], a[8:15], v[42:45]// 0000000047A0: D3AD002A 1CAA1158
	v_mfma_f32_16x16x128_f8f6f4 v[42:45], a[96:103], a[16:23], v[42:45]// 0000000047A8: D3AD002A 1CAA2160
	v_mfma_f32_16x16x128_f8f6f4 v[42:45], a[104:111], a[24:31], v[42:45]// 0000000047B0: D3AD002A 1CAA3168
	v_mfma_f32_16x16x128_f8f6f4 v[42:45], a[112:119], a[32:39], v[42:45]// 0000000047B8: D3AD002A 1CAA4170
	s_nop 8                                                    // 0000000047C0: BF800008
	s_and_b32 s60, s48, 0xff                                   // 0000000047C4: 863CFF30 000000FF
	v_mov_b32_e32 v29, s60                                     // 0000000047CC: 7E3A023C
	v_lshrrev_b32_e32 v108, 4, v0                              // 0000000047D0: 20D80084
	v_mul_i32_i24_e32 v108, 4, v108                            // 0000000047D4: 0CD8D884
	s_mov_b32 s60, 32                                          // 0000000047D8: BEBC00A0
	s_mul_i32 s60, s60, s7                                     // 0000000047DC: 923C073C
	v_add_u32_e32 v108, s60, v108                              // 0000000047E0: 68D8D83C
	v_add_u32_e32 v109, 1, v108                                // 0000000047E4: 68DAD881
	v_add_u32_e32 v110, 2, v108                                // 0000000047E8: 68DCD882
	v_add_u32_e32 v111, 3, v108                                // 0000000047EC: 68DED883
	v_mov_b32_e32 v28, 0xff800000                              // 0000000047F0: 7E3802FF FF800000
	v_cmp_lt_u32_e64 s[36:37], v108, v29                       // 0000000047F8: D0C90024 00023B6C
	v_add_u32_e32 v108, 16, v108                               // 000000004800: 68D8D890
	s_nop 0                                                    // 000000004804: BF800000
	v_cndmask_b32_e64 v38, v28, v38, s[36:37]                  // 000000004808: D1000026 00924D1C
	v_cmp_lt_u32_e64 s[36:37], v109, v29                       // 000000004810: D0C90024 00023B6D
	v_add_u32_e32 v109, 16, v109                               // 000000004818: 68DADA90
	s_nop 0                                                    // 00000000481C: BF800000
	v_cndmask_b32_e64 v39, v28, v39, s[36:37]                  // 000000004820: D1000027 00924F1C
	v_cmp_lt_u32_e64 s[36:37], v110, v29                       // 000000004828: D0C90024 00023B6E
	v_add_u32_e32 v110, 16, v110                               // 000000004830: 68DCDC90
	s_nop 0                                                    // 000000004834: BF800000
	v_cndmask_b32_e64 v40, v28, v40, s[36:37]                  // 000000004838: D1000028 0092511C
	v_cmp_lt_u32_e64 s[36:37], v111, v29                       // 000000004840: D0C90024 00023B6F
	v_add_u32_e32 v111, 16, v111                               // 000000004848: 68DEDE90
	s_nop 0                                                    // 00000000484C: BF800000
	v_cndmask_b32_e64 v41, v28, v41, s[36:37]                  // 000000004850: D1000029 0092531C
	v_cmp_lt_u32_e64 s[36:37], v108, v29                       // 000000004858: D0C90024 00023B6C
	v_add_u32_e32 v108, 16, v108                               // 000000004860: 68D8D890
	s_nop 0                                                    // 000000004864: BF800000
	v_cndmask_b32_e64 v42, v28, v42, s[36:37]                  // 000000004868: D100002A 0092551C
	v_cmp_lt_u32_e64 s[36:37], v109, v29                       // 000000004870: D0C90024 00023B6D
	v_add_u32_e32 v109, 16, v109                               // 000000004878: 68DADA90
	s_nop 0                                                    // 00000000487C: BF800000
	v_cndmask_b32_e64 v43, v28, v43, s[36:37]                  // 000000004880: D100002B 0092571C
	v_cmp_lt_u32_e64 s[36:37], v110, v29                       // 000000004888: D0C90024 00023B6E
	v_add_u32_e32 v110, 16, v110                               // 000000004890: 68DCDC90
	s_nop 0                                                    // 000000004894: BF800000
	v_cndmask_b32_e64 v44, v28, v44, s[36:37]                  // 000000004898: D100002C 0092591C
	v_cmp_lt_u32_e64 s[36:37], v111, v29                       // 0000000048A0: D0C90024 00023B6F
	v_add_u32_e32 v111, 16, v111                               // 0000000048A8: 68DEDE90
	s_nop 0                                                    // 0000000048AC: BF800000
	v_cndmask_b32_e64 v45, v28, v45, s[36:37]                  // 0000000048B0: D100002D 00925B1C
	s_nop 2                                                    // 0000000048B8: BF800002
	v_mov_b32_e32 v29, v38                                     // 0000000048BC: 7E3A0326
	v_max3_f32 v29, v38, v39, v29                              // 0000000048C0: D1D3001D 04764F26
	v_max3_f32 v29, v40, v41, v29                              // 0000000048C8: D1D3001D 04765328
	v_max3_f32 v29, v42, v43, v29                              // 0000000048D0: D1D3001D 0476572A
	v_max3_f32 v29, v44, v45, v29                              // 0000000048D8: D1D3001D 04765B2C
	v_mov_b32_e32 v28, v29                                     // 0000000048E0: 7E38031D
	v_mov_b32_e32 v29, v29                                     // 0000000048E4: 7E3A031D
	s_nop 1                                                    // 0000000048E8: BF800001
	v_permlane16_swap_b32_e32 v28, v29                         // 0000000048EC: 7E38B31D
	v_mov_b32_e32 v31, v28                                     // 0000000048F0: 7E3E031C
	v_mov_b32_e32 v30, v29                                     // 0000000048F4: 7E3C031D
	s_nop 1                                                    // 0000000048F8: BF800001
	v_permlane32_swap_b32_e32 v28, v29                         // 0000000048FC: 7E38B51D
	v_permlane32_swap_b32_e32 v30, v31                         // 000000004900: 7E3CB51F
	v_max3_f32 v29, v28, v29, v29                              // 000000004904: D1D3001D 04763B1C
	v_max3_f32 v29, v30, v31, v29                              // 00000000490C: D1D3001D 04763F1E
	ds_write_b32 v36, v29                                      // 000000004914: D81A0000 00001D24
	s_waitcnt lgkmcnt(0)                                       // 00000000491C: BF8CC07F
	s_barrier                                                  // 000000004920: BF8A0000
	ds_read_b32 v46, v37                                       // 000000004924: D86C0000 2E000025
	ds_read_b32 v47, v37 offset:256                            // 00000000492C: D86C0100 2F000025
	ds_read_b32 v48, v37 offset:512                            // 000000004934: D86C0200 30000025
	ds_read_b32 v49, v37 offset:768                            // 00000000493C: D86C0300 31000025
	s_waitcnt lgkmcnt(0)                                       // 000000004944: BF8CC07F
	v_max3_f32 v29, v46, v47, v29                              // 000000004948: D1D3001D 04765F2E
	v_max3_f32 v29, v48, v49, v29                              // 000000004950: D1D3001D 04766330
	v_mov_b32_e32 v28, 0xff800000                              // 000000004958: 7E3802FF FF800000
	v_cmp_eq_u32_e64 s[36:37], v28, v2                         // 000000004960: D0CA0024 0002051C
	v_max_f32_e32 v29, v29, v2                                 // 000000004968: 163A051D
	v_sub_f32_e32 v18, v2, v29                                 // 00000000496C: 04243B02
	v_cndmask_b32_e64 v18, v18, 0, s[36:37]                    // 000000004970: D1000012 00910112
	v_mov_b32_e32 v2, v29                                      // 000000004978: 7E04031D
	v_mul_f32_e32 v29, s100, v29                               // 00000000497C: 0A3A3A64
	v_mul_f32_e32 v18, s100, v18                               // 000000004980: 0A242464
	v_exp_f32_e32 v18, v18                                     // 000000004984: 7E244112
	s_mov_b32 s101, s100                                       // 000000004988: BEE50064
	v_add_f32_e64 v30, 0, -v29                                 // 00000000498C: D101001E 40023A80
	v_mov_b32_e32 v31, v30                                     // 000000004994: 7E3E031E
	v_pk_fma_f32 v[38:39], v[38:39], s[100:101], v[30:31]      // 000000004998: D3B04026 1C78C926
	v_pk_fma_f32 v[40:41], v[40:41], s[100:101], v[30:31]      // 0000000049A0: D3B04028 1C78C928
	v_pk_fma_f32 v[42:43], v[42:43], s[100:101], v[30:31]      // 0000000049A8: D3B0402A 1C78C92A
	v_pk_fma_f32 v[44:45], v[44:45], s[100:101], v[30:31]      // 0000000049B0: D3B0402C 1C78C92C
	v_exp_f32_e32 v38, v38                                     // 0000000049B8: 7E4C4126
	v_exp_f32_e32 v39, v39                                     // 0000000049BC: 7E4E4127
	v_exp_f32_e32 v40, v40                                     // 0000000049C0: 7E504128
	v_exp_f32_e32 v41, v41                                     // 0000000049C4: 7E524129
	v_exp_f32_e32 v42, v42                                     // 0000000049C8: 7E54412A
	v_exp_f32_e32 v43, v43                                     // 0000000049CC: 7E56412B
	v_exp_f32_e32 v44, v44                                     // 0000000049D0: 7E58412C
	v_exp_f32_e32 v45, v45                                     // 0000000049D4: 7E5A412D
	v_mul_f32_e32 v4, v18, v4                                  // 0000000049D8: 0A080912
	v_mov_b32_e32 v28, v38                                     // 0000000049DC: 7E380326
	v_add_f32_e32 v28, v39, v28                                // 0000000049E0: 02383927
	v_add_f32_e32 v28, v40, v28                                // 0000000049E4: 02383928
	v_add_f32_e32 v28, v41, v28                                // 0000000049E8: 02383929
	v_add_f32_e32 v28, v42, v28                                // 0000000049EC: 0238392A
	v_add_f32_e32 v28, v43, v28                                // 0000000049F0: 0238392B
	v_add_f32_e32 v28, v44, v28                                // 0000000049F4: 0238392C
	v_add_f32_e32 v28, v45, v28                                // 0000000049F8: 0238392D
	v_add_f32_e32 v4, v28, v4                                  // 0000000049FC: 0208091C
	v_cvt_pk_fp8_f32 v38, v38, v39                             // 000000004A00: D2A20026 00024F26
	v_cvt_pk_fp8_f32 v38, v40, v41 op_sel:[0,0,1]              // 000000004A08: D2A24026 00025328
	v_cvt_pk_fp8_f32 v39, v42, v43                             // 000000004A10: D2A20027 0002572A
	v_cvt_pk_fp8_f32 v39, v44, v45 op_sel:[0,0,1]              // 000000004A18: D2A24027 00025B2C
	s_nop 0                                                    // 000000004A20: BF800000
	v_permlane16_swap_b32_e32 v38, v39                         // 000000004A24: 7E4CB327
	ds_write_b64 v34, v[38:39]                                 // 000000004A28: D89A0000 00002622
	s_waitcnt lgkmcnt(0)                                       // 000000004A30: BF8CC07F
	s_barrier                                                  // 000000004A34: BF8A0000
	ds_read_b64 v[38:39], v35                                  // 000000004A38: D8EC0000 26000023
	ds_read_b64 v[40:41], v35 offset:256                       // 000000004A40: D8EC0100 28000023
	ds_read_b64 v[42:43], v35 offset:1024                      // 000000004A48: D8EC0400 2A000023
	ds_read_b64 v[44:45], v35 offset:1280                      // 000000004A50: D8EC0500 2C000023
	v_mul_f32_e32 v74, v18, v74                                // 000000004A58: 0A949512
	v_mul_f32_e32 v75, v18, v75                                // 000000004A5C: 0A969712
	v_mul_f32_e32 v76, v18, v76                                // 000000004A60: 0A989912
	v_mul_f32_e32 v77, v18, v77                                // 000000004A64: 0A9A9B12
	v_mul_f32_e32 v78, v18, v78                                // 000000004A68: 0A9C9D12
	v_mul_f32_e32 v79, v18, v79                                // 000000004A6C: 0A9E9F12
	v_mul_f32_e32 v80, v18, v80                                // 000000004A70: 0AA0A112
	v_mul_f32_e32 v81, v18, v81                                // 000000004A74: 0AA2A312
	v_mul_f32_e32 v82, v18, v82                                // 000000004A78: 0AA4A512
	v_mul_f32_e32 v83, v18, v83                                // 000000004A7C: 0AA6A712
	v_mul_f32_e32 v84, v18, v84                                // 000000004A80: 0AA8A912
	v_mul_f32_e32 v85, v18, v85                                // 000000004A84: 0AAAAB12
	v_mul_f32_e32 v86, v18, v86                                // 000000004A88: 0AACAD12
	v_mul_f32_e32 v87, v18, v87                                // 000000004A8C: 0AAEAF12
	v_mul_f32_e32 v88, v18, v88                                // 000000004A90: 0AB0B112
	v_mul_f32_e32 v89, v18, v89                                // 000000004A94: 0AB2B312
	v_mul_f32_e32 v90, v18, v90                                // 000000004A98: 0AB4B512
	v_mul_f32_e32 v91, v18, v91                                // 000000004A9C: 0AB6B712
	v_mul_f32_e32 v92, v18, v92                                // 000000004AA0: 0AB8B912
	v_mul_f32_e32 v93, v18, v93                                // 000000004AA4: 0ABABB12
	v_mul_f32_e32 v94, v18, v94                                // 000000004AA8: 0ABCBD12
	v_mul_f32_e32 v95, v18, v95                                // 000000004AAC: 0ABEBF12
	v_mul_f32_e32 v96, v18, v96                                // 000000004AB0: 0AC0C112
	v_mul_f32_e32 v97, v18, v97                                // 000000004AB4: 0AC2C312
	v_mul_f32_e32 v98, v18, v98                                // 000000004AB8: 0AC4C512
	v_mul_f32_e32 v99, v18, v99                                // 000000004ABC: 0AC6C712
	v_mul_f32_e32 v100, v18, v100                              // 000000004AC0: 0AC8C912
	v_mul_f32_e32 v101, v18, v101                              // 000000004AC4: 0ACACB12
	v_mul_f32_e32 v102, v18, v102                              // 000000004AC8: 0ACCCD12
	v_mul_f32_e32 v103, v18, v103                              // 000000004ACC: 0ACECF12
	v_mul_f32_e32 v104, v18, v104                              // 000000004AD0: 0AD0D112
	v_mul_f32_e32 v105, v18, v105                              // 000000004AD4: 0AD2D312
	s_waitcnt lgkmcnt(0)                                       // 000000004AD8: BF8CC07F
	v_mfma_f32_16x16x128_f8f6f4 v[74:77], a[120:127], v[38:45], v[74:77]// 000000004ADC: D3AD004A 0D2A4D78
	v_mfma_f32_16x16x128_f8f6f4 v[78:81], a[128:135], v[38:45], v[78:81]// 000000004AE4: D3AD004E 0D3A4D80
	v_mfma_f32_16x16x128_f8f6f4 v[82:85], a[136:143], v[38:45], v[82:85]// 000000004AEC: D3AD0052 0D4A4D88
	v_mfma_f32_16x16x128_f8f6f4 v[86:89], a[144:151], v[38:45], v[86:89]// 000000004AF4: D3AD0056 0D5A4D90
	v_mfma_f32_16x16x128_f8f6f4 v[90:93], a[152:159], v[38:45], v[90:93]// 000000004AFC: D3AD005A 0D6A4D98
	v_mfma_f32_16x16x128_f8f6f4 v[94:97], a[160:167], v[38:45], v[94:97]// 000000004B04: D3AD005E 0D7A4DA0
	v_mfma_f32_16x16x128_f8f6f4 v[98:101], a[168:175], v[38:45], v[98:101]// 000000004B0C: D3AD0062 0D8A4DA8
	v_mfma_f32_16x16x128_f8f6f4 v[102:105], a[176:183], v[38:45], v[102:105]// 000000004B14: D3AD0066 0D9A4DB0
	s_branch label_2BA8                                        // 000000004B1C: BF820100

0000000000004b20 <label_2720>:
	s_waitcnt lgkmcnt(0)                                       // 000000004B20: BF8CC07F
	v_mfma_f32_16x16x128_f8f6f4 v[38:41], a[40:47], a[0:7], 0  // 000000004B24: D3AD0026 1A020128
	ds_read_b128 a[80:83], v20 offset:9216                     // 000000004B2C: DBFE2400 50000014
	v_mfma_f32_16x16x128_f8f6f4 v[38:41], a[48:55], a[8:15], v[38:41]// 000000004B34: D3AD0026 1C9A1130
	ds_read_b128 a[84:87], v20 offset:10240                    // 000000004B3C: DBFE2800 54000014
	v_mfma_f32_16x16x128_f8f6f4 v[38:41], a[56:63], a[16:23], v[38:41]// 000000004B44: D3AD0026 1C9A2138
	ds_read_b128 a[88:91], v20 offset:11264                    // 000000004B4C: DBFE2C00 58000014
	v_mfma_f32_16x16x128_f8f6f4 v[38:41], a[64:71], a[24:31], v[38:41]// 000000004B54: D3AD0026 1C9A3140
	ds_read_b128 a[92:95], v20 offset:12288                    // 000000004B5C: DBFE3000 5C000014
	v_mfma_f32_16x16x128_f8f6f4 v[38:41], a[72:79], a[32:39], v[38:41]// 000000004B64: D3AD0026 1C9A4148
	ds_read_b128 a[96:99], v20 offset:13312                    // 000000004B6C: DBFE3400 60000014
	ds_read_b128 a[100:103], v20 offset:14336                  // 000000004B74: DBFE3800 64000014
	ds_read_b128 a[104:107], v20 offset:15360                  // 000000004B7C: DBFE3C00 68000014
	ds_read_b128 a[108:111], v20 offset:16384                  // 000000004B84: DBFE4000 6C000014
	ds_read_b128 a[112:115], v20 offset:17408                  // 000000004B8C: DBFE4400 70000014
	s_waitcnt lgkmcnt(0)                                       // 000000004B94: BF8CC07F
	v_mfma_f32_16x16x128_f8f6f4 v[42:45], a[80:87], a[0:7], 0  // 000000004B98: D3AD002A 1A020150
	v_mfma_f32_16x16x128_f8f6f4 v[42:45], a[88:95], a[8:15], v[42:45]// 000000004BA0: D3AD002A 1CAA1158
	v_mfma_f32_16x16x128_f8f6f4 v[42:45], a[96:103], a[16:23], v[42:45]// 000000004BA8: D3AD002A 1CAA2160
	v_mfma_f32_16x16x128_f8f6f4 v[42:45], a[104:111], a[24:31], v[42:45]// 000000004BB0: D3AD002A 1CAA3168
	v_mfma_f32_16x16x128_f8f6f4 v[42:45], a[112:119], a[32:39], v[42:45]// 000000004BB8: D3AD002A 1CAA4170
	s_nop 8                                                    // 000000004BC0: BF800008
	s_and_b32 s60, s48, 0xff                                   // 000000004BC4: 863CFF30 000000FF
	v_mov_b32_e32 v29, s60                                     // 000000004BCC: 7E3A023C
	v_lshrrev_b32_e32 v108, 4, v0                              // 000000004BD0: 20D80084
	v_mul_i32_i24_e32 v108, 4, v108                            // 000000004BD4: 0CD8D884
	s_mov_b32 s60, 32                                          // 000000004BD8: BEBC00A0
	s_mul_i32 s60, s60, s7                                     // 000000004BDC: 923C073C
	v_add_u32_e32 v108, s60, v108                              // 000000004BE0: 68D8D83C
	v_add_u32_e32 v109, 1, v108                                // 000000004BE4: 68DAD881
	v_add_u32_e32 v110, 2, v108                                // 000000004BE8: 68DCD882
	v_add_u32_e32 v111, 3, v108                                // 000000004BEC: 68DED883
	v_mov_b32_e32 v28, 0xff800000                              // 000000004BF0: 7E3802FF FF800000
	v_cmp_lt_u32_e64 s[36:37], v108, v29                       // 000000004BF8: D0C90024 00023B6C
	v_add_u32_e32 v108, 16, v108                               // 000000004C00: 68D8D890
	s_nop 0                                                    // 000000004C04: BF800000
	v_cndmask_b32_e64 v38, v28, v38, s[36:37]                  // 000000004C08: D1000026 00924D1C
	v_cmp_lt_u32_e64 s[36:37], v109, v29                       // 000000004C10: D0C90024 00023B6D
	v_add_u32_e32 v109, 16, v109                               // 000000004C18: 68DADA90
	s_nop 0                                                    // 000000004C1C: BF800000
	v_cndmask_b32_e64 v39, v28, v39, s[36:37]                  // 000000004C20: D1000027 00924F1C
	v_cmp_lt_u32_e64 s[36:37], v110, v29                       // 000000004C28: D0C90024 00023B6E
	v_add_u32_e32 v110, 16, v110                               // 000000004C30: 68DCDC90
	s_nop 0                                                    // 000000004C34: BF800000
	v_cndmask_b32_e64 v40, v28, v40, s[36:37]                  // 000000004C38: D1000028 0092511C
	v_cmp_lt_u32_e64 s[36:37], v111, v29                       // 000000004C40: D0C90024 00023B6F
	v_add_u32_e32 v111, 16, v111                               // 000000004C48: 68DEDE90
	s_nop 0                                                    // 000000004C4C: BF800000
	v_cndmask_b32_e64 v41, v28, v41, s[36:37]                  // 000000004C50: D1000029 0092531C
	v_cmp_lt_u32_e64 s[36:37], v108, v29                       // 000000004C58: D0C90024 00023B6C
	v_add_u32_e32 v108, 16, v108                               // 000000004C60: 68D8D890
	s_nop 0                                                    // 000000004C64: BF800000
	v_cndmask_b32_e64 v42, v28, v42, s[36:37]                  // 000000004C68: D100002A 0092551C
	v_cmp_lt_u32_e64 s[36:37], v109, v29                       // 000000004C70: D0C90024 00023B6D
	v_add_u32_e32 v109, 16, v109                               // 000000004C78: 68DADA90
	s_nop 0                                                    // 000000004C7C: BF800000
	v_cndmask_b32_e64 v43, v28, v43, s[36:37]                  // 000000004C80: D100002B 0092571C
	v_cmp_lt_u32_e64 s[36:37], v110, v29                       // 000000004C88: D0C90024 00023B6E
	v_add_u32_e32 v110, 16, v110                               // 000000004C90: 68DCDC90
	s_nop 0                                                    // 000000004C94: BF800000
	v_cndmask_b32_e64 v44, v28, v44, s[36:37]                  // 000000004C98: D100002C 0092591C
	v_cmp_lt_u32_e64 s[36:37], v111, v29                       // 000000004CA0: D0C90024 00023B6F
	v_add_u32_e32 v111, 16, v111                               // 000000004CA8: 68DEDE90
	s_nop 0                                                    // 000000004CAC: BF800000
	v_cndmask_b32_e64 v45, v28, v45, s[36:37]                  // 000000004CB0: D100002D 00925B1C
	s_nop 2                                                    // 000000004CB8: BF800002
	v_mov_b32_e32 v29, v38                                     // 000000004CBC: 7E3A0326
	v_max3_f32 v29, v38, v39, v29                              // 000000004CC0: D1D3001D 04764F26
	v_max3_f32 v29, v40, v41, v29                              // 000000004CC8: D1D3001D 04765328
	v_max3_f32 v29, v42, v43, v29                              // 000000004CD0: D1D3001D 0476572A
	v_max3_f32 v29, v44, v45, v29                              // 000000004CD8: D1D3001D 04765B2C
	v_mov_b32_e32 v28, v29                                     // 000000004CE0: 7E38031D
	v_mov_b32_e32 v29, v29                                     // 000000004CE4: 7E3A031D
	s_nop 1                                                    // 000000004CE8: BF800001
	v_permlane16_swap_b32_e32 v28, v29                         // 000000004CEC: 7E38B31D
	v_mov_b32_e32 v31, v28                                     // 000000004CF0: 7E3E031C
	v_mov_b32_e32 v30, v29                                     // 000000004CF4: 7E3C031D
	s_nop 1                                                    // 000000004CF8: BF800001
	v_permlane32_swap_b32_e32 v28, v29                         // 000000004CFC: 7E38B51D
	v_permlane32_swap_b32_e32 v30, v31                         // 000000004D00: 7E3CB51F
	v_max3_f32 v29, v28, v29, v29                              // 000000004D04: D1D3001D 04763B1C
	v_max3_f32 v29, v30, v31, v29                              // 000000004D0C: D1D3001D 04763F1E
	ds_write_b32 v36, v29                                      // 000000004D14: D81A0000 00001D24
	s_waitcnt lgkmcnt(0)                                       // 000000004D1C: BF8CC07F
	s_barrier                                                  // 000000004D20: BF8A0000
	ds_read_b32 v46, v37                                       // 000000004D24: D86C0000 2E000025
	ds_read_b32 v47, v37 offset:256                            // 000000004D2C: D86C0100 2F000025
	ds_read_b32 v48, v37 offset:512                            // 000000004D34: D86C0200 30000025
	ds_read_b32 v49, v37 offset:768                            // 000000004D3C: D86C0300 31000025
	s_waitcnt lgkmcnt(0)                                       // 000000004D44: BF8CC07F
	v_max3_f32 v29, v46, v47, v29                              // 000000004D48: D1D3001D 04765F2E
	v_max3_f32 v29, v48, v49, v29                              // 000000004D50: D1D3001D 04766330
	v_mov_b32_e32 v28, 0xff800000                              // 000000004D58: 7E3802FF FF800000
	v_cmp_eq_u32_e64 s[36:37], v28, v2                         // 000000004D60: D0CA0024 0002051C
	v_max_f32_e32 v29, v29, v2                                 // 000000004D68: 163A051D
	v_sub_f32_e32 v18, v2, v29                                 // 000000004D6C: 04243B02
	v_cndmask_b32_e64 v18, v18, 0, s[36:37]                    // 000000004D70: D1000012 00910112
	v_mov_b32_e32 v2, v29                                      // 000000004D78: 7E04031D
	v_mul_f32_e32 v29, s100, v29                               // 000000004D7C: 0A3A3A64
	v_mul_f32_e32 v18, s100, v18                               // 000000004D80: 0A242464
	v_exp_f32_e32 v18, v18                                     // 000000004D84: 7E244112
	s_mov_b32 s101, s100                                       // 000000004D88: BEE50064
	v_add_f32_e64 v30, 0, -v29                                 // 000000004D8C: D101001E 40023A80
	v_mov_b32_e32 v31, v30                                     // 000000004D94: 7E3E031E
	v_pk_fma_f32 v[38:39], v[38:39], s[100:101], v[30:31]      // 000000004D98: D3B04026 1C78C926
	v_pk_fma_f32 v[40:41], v[40:41], s[100:101], v[30:31]      // 000000004DA0: D3B04028 1C78C928
	v_pk_fma_f32 v[42:43], v[42:43], s[100:101], v[30:31]      // 000000004DA8: D3B0402A 1C78C92A
	v_pk_fma_f32 v[44:45], v[44:45], s[100:101], v[30:31]      // 000000004DB0: D3B0402C 1C78C92C
	v_exp_f32_e32 v38, v38                                     // 000000004DB8: 7E4C4126
	v_exp_f32_e32 v39, v39                                     // 000000004DBC: 7E4E4127
	v_exp_f32_e32 v40, v40                                     // 000000004DC0: 7E504128
	v_exp_f32_e32 v41, v41                                     // 000000004DC4: 7E524129
	v_exp_f32_e32 v42, v42                                     // 000000004DC8: 7E54412A
	v_exp_f32_e32 v43, v43                                     // 000000004DCC: 7E56412B
	v_exp_f32_e32 v44, v44                                     // 000000004DD0: 7E58412C
	v_exp_f32_e32 v45, v45                                     // 000000004DD4: 7E5A412D
	v_mul_f32_e32 v4, v18, v4                                  // 000000004DD8: 0A080912
	v_mov_b32_e32 v28, v38                                     // 000000004DDC: 7E380326
	v_add_f32_e32 v28, v39, v28                                // 000000004DE0: 02383927
	v_add_f32_e32 v28, v40, v28                                // 000000004DE4: 02383928
	v_add_f32_e32 v28, v41, v28                                // 000000004DE8: 02383929
	v_add_f32_e32 v28, v42, v28                                // 000000004DEC: 0238392A
	v_add_f32_e32 v28, v43, v28                                // 000000004DF0: 0238392B
	v_add_f32_e32 v28, v44, v28                                // 000000004DF4: 0238392C
	v_add_f32_e32 v28, v45, v28                                // 000000004DF8: 0238392D
	v_add_f32_e32 v4, v28, v4                                  // 000000004DFC: 0208091C
	v_cvt_pk_fp8_f32 v38, v38, v39                             // 000000004E00: D2A20026 00024F26
	v_cvt_pk_fp8_f32 v38, v40, v41 op_sel:[0,0,1]              // 000000004E08: D2A24026 00025328
	v_cvt_pk_fp8_f32 v39, v42, v43                             // 000000004E10: D2A20027 0002572A
	v_cvt_pk_fp8_f32 v39, v44, v45 op_sel:[0,0,1]              // 000000004E18: D2A24027 00025B2C
	s_nop 0                                                    // 000000004E20: BF800000
	v_permlane16_swap_b32_e32 v38, v39                         // 000000004E24: 7E4CB327
	ds_write_b64 v34, v[38:39]                                 // 000000004E28: D89A0000 00002622
	s_waitcnt lgkmcnt(0)                                       // 000000004E30: BF8CC07F
	s_barrier                                                  // 000000004E34: BF8A0000
	ds_read_b64 v[38:39], v35                                  // 000000004E38: D8EC0000 26000023
	ds_read_b64 v[40:41], v35 offset:256                       // 000000004E40: D8EC0100 28000023
	ds_read_b64 v[42:43], v35 offset:1024                      // 000000004E48: D8EC0400 2A000023
	ds_read_b64 v[44:45], v35 offset:1280                      // 000000004E50: D8EC0500 2C000023
	v_mul_f32_e32 v74, v18, v74                                // 000000004E58: 0A949512
	v_mul_f32_e32 v75, v18, v75                                // 000000004E5C: 0A969712
	v_mul_f32_e32 v76, v18, v76                                // 000000004E60: 0A989912
	v_mul_f32_e32 v77, v18, v77                                // 000000004E64: 0A9A9B12
	v_mul_f32_e32 v78, v18, v78                                // 000000004E68: 0A9C9D12
	v_mul_f32_e32 v79, v18, v79                                // 000000004E6C: 0A9E9F12
	v_mul_f32_e32 v80, v18, v80                                // 000000004E70: 0AA0A112
	v_mul_f32_e32 v81, v18, v81                                // 000000004E74: 0AA2A312
	v_mul_f32_e32 v82, v18, v82                                // 000000004E78: 0AA4A512
	v_mul_f32_e32 v83, v18, v83                                // 000000004E7C: 0AA6A712
	v_mul_f32_e32 v84, v18, v84                                // 000000004E80: 0AA8A912
	v_mul_f32_e32 v85, v18, v85                                // 000000004E84: 0AAAAB12
	v_mul_f32_e32 v86, v18, v86                                // 000000004E88: 0AACAD12
	v_mul_f32_e32 v87, v18, v87                                // 000000004E8C: 0AAEAF12
	v_mul_f32_e32 v88, v18, v88                                // 000000004E90: 0AB0B112
	v_mul_f32_e32 v89, v18, v89                                // 000000004E94: 0AB2B312
	v_mul_f32_e32 v90, v18, v90                                // 000000004E98: 0AB4B512
	v_mul_f32_e32 v91, v18, v91                                // 000000004E9C: 0AB6B712
	v_mul_f32_e32 v92, v18, v92                                // 000000004EA0: 0AB8B912
	v_mul_f32_e32 v93, v18, v93                                // 000000004EA4: 0ABABB12
	v_mul_f32_e32 v94, v18, v94                                // 000000004EA8: 0ABCBD12
	v_mul_f32_e32 v95, v18, v95                                // 000000004EAC: 0ABEBF12
	v_mul_f32_e32 v96, v18, v96                                // 000000004EB0: 0AC0C112
	v_mul_f32_e32 v97, v18, v97                                // 000000004EB4: 0AC2C312
	v_mul_f32_e32 v98, v18, v98                                // 000000004EB8: 0AC4C512
	v_mul_f32_e32 v99, v18, v99                                // 000000004EBC: 0AC6C712
	v_mul_f32_e32 v100, v18, v100                              // 000000004EC0: 0AC8C912
	v_mul_f32_e32 v101, v18, v101                              // 000000004EC4: 0ACACB12
	v_mul_f32_e32 v102, v18, v102                              // 000000004EC8: 0ACCCD12
	v_mul_f32_e32 v103, v18, v103                              // 000000004ECC: 0ACECF12
	v_mul_f32_e32 v104, v18, v104                              // 000000004ED0: 0AD0D112
	v_mul_f32_e32 v105, v18, v105                              // 000000004ED4: 0AD2D312
	s_waitcnt lgkmcnt(0)                                       // 000000004ED8: BF8CC07F
	v_mfma_f32_16x16x128_f8f6f4 v[74:77], a[120:127], v[38:45], v[74:77]// 000000004EDC: D3AD004A 0D2A4D78
	v_mfma_f32_16x16x128_f8f6f4 v[78:81], a[128:135], v[38:45], v[78:81]// 000000004EE4: D3AD004E 0D3A4D80
	v_mfma_f32_16x16x128_f8f6f4 v[82:85], a[136:143], v[38:45], v[82:85]// 000000004EEC: D3AD0052 0D4A4D88
	v_mfma_f32_16x16x128_f8f6f4 v[86:89], a[144:151], v[38:45], v[86:89]// 000000004EF4: D3AD0056 0D5A4D90
	v_mfma_f32_16x16x128_f8f6f4 v[90:93], a[152:159], v[38:45], v[90:93]// 000000004EFC: D3AD005A 0D6A4D98
	v_mfma_f32_16x16x128_f8f6f4 v[94:97], a[160:167], v[38:45], v[94:97]// 000000004F04: D3AD005E 0D7A4DA0
	v_mfma_f32_16x16x128_f8f6f4 v[98:101], a[168:175], v[38:45], v[98:101]// 000000004F0C: D3AD0062 0D8A4DA8
	v_mfma_f32_16x16x128_f8f6f4 v[102:105], a[176:183], v[38:45], v[102:105]// 000000004F14: D3AD0066 0D9A4DB0
	s_branch label_2BA8                                        // 000000004F1C: BF820000

0000000000004f20 <label_2BA8>:
	v_mov_b32_e32 v28, v4                                      // 000000004F20: 7E380304
	v_mov_b32_e32 v29, v4                                      // 000000004F24: 7E3A0304
	s_nop 1                                                    // 000000004F28: BF800001
	v_permlane16_swap_b32_e32 v28, v29                         // 000000004F2C: 7E38B31D
	v_mov_b32_e32 v31, v28                                     // 000000004F30: 7E3E031C
	v_mov_b32_e32 v30, v29                                     // 000000004F34: 7E3C031D
	s_nop 1                                                    // 000000004F38: BF800001
	v_permlane32_swap_b32_e32 v28, v29                         // 000000004F3C: 7E38B51D
	v_permlane32_swap_b32_e32 v30, v31                         // 000000004F40: 7E3CB51F
	v_mov_b32_e32 v4, 0                                        // 000000004F44: 7E080280
	v_add_f32_e32 v4, v28, v4                                  // 000000004F48: 0208091C
	v_add_f32_e32 v4, v29, v4                                  // 000000004F4C: 0208091D
	v_add_f32_e32 v4, v30, v4                                  // 000000004F50: 0208091E
	v_add_f32_e32 v4, v31, v4                                  // 000000004F54: 0208091F
	ds_write_b32 v36, v4                                       // 000000004F58: D81A0000 00000424
	s_waitcnt lgkmcnt(0)                                       // 000000004F60: BF8CC07F
	s_barrier                                                  // 000000004F64: BF8A0000
	ds_read_b32 v46, v37                                       // 000000004F68: D86C0000 2E000025
	ds_read_b32 v47, v37 offset:256                            // 000000004F70: D86C0100 2F000025
	ds_read_b32 v48, v37 offset:512                            // 000000004F78: D86C0200 30000025
	ds_read_b32 v49, v37 offset:768                            // 000000004F80: D86C0300 31000025
	v_mov_b32_e32 v29, 0                                       // 000000004F88: 7E3A0280
	s_waitcnt lgkmcnt(0)                                       // 000000004F8C: BF8CC07F
	v_add_f32_e32 v29, v46, v29                                // 000000004F90: 023A3B2E
	v_add_f32_e32 v29, v47, v29                                // 000000004F94: 023A3B2F
	v_add_f32_e32 v29, v48, v29                                // 000000004F98: 023A3B30
	v_add_f32_e32 v29, v49, v29                                // 000000004F9C: 023A3B31
	v_mov_b32_e32 v4, v29                                      // 000000004FA0: 7E08031D
	v_mov_b32_e32 v28, 0                                       // 000000004FA4: 7E380280
	v_cmp_eq_u32_e64 s[36:37], v28, v4                         // 000000004FA8: D0CA0024 0002091C
	v_mul_f32_e64 v28, v2, s68                                 // 000000004FB0: D105001C 00008902
	v_log_f32_e32 v29, v4                                      // 000000004FB8: 7E3A4304
	s_nop 1                                                    // 000000004FBC: BF800001
	v_rcp_f32_e32 v4, v4                                       // 000000004FC0: 7E084504
	s_nop 1                                                    // 000000004FC4: BF800001
	v_fma_f32 v1, v29, s67, v28                                // 000000004FC8: D1CB0001 0470871D
	v_mul_f32_e32 v4, s65, v4                                  // 000000004FD0: 0A080841
	v_mul_f32_e32 v74, v4, v74                                 // 000000004FD4: 0A949504
	v_mul_f32_e32 v75, v4, v75                                 // 000000004FD8: 0A969704
	v_mul_f32_e32 v76, v4, v76                                 // 000000004FDC: 0A989904
	v_mul_f32_e32 v77, v4, v77                                 // 000000004FE0: 0A9A9B04
	v_mul_f32_e32 v78, v4, v78                                 // 000000004FE4: 0A9C9D04
	v_mul_f32_e32 v79, v4, v79                                 // 000000004FE8: 0A9E9F04
	v_mul_f32_e32 v80, v4, v80                                 // 000000004FEC: 0AA0A104
	v_mul_f32_e32 v81, v4, v81                                 // 000000004FF0: 0AA2A304
	v_mul_f32_e32 v82, v4, v82                                 // 000000004FF4: 0AA4A504
	v_mul_f32_e32 v83, v4, v83                                 // 000000004FF8: 0AA6A704
	v_mul_f32_e32 v84, v4, v84                                 // 000000004FFC: 0AA8A904
	v_mul_f32_e32 v85, v4, v85                                 // 000000005000: 0AAAAB04
	v_mul_f32_e32 v86, v4, v86                                 // 000000005004: 0AACAD04
	v_mul_f32_e32 v87, v4, v87                                 // 000000005008: 0AAEAF04
	v_mul_f32_e32 v88, v4, v88                                 // 00000000500C: 0AB0B104
	v_mul_f32_e32 v89, v4, v89                                 // 000000005010: 0AB2B304
	v_mul_f32_e32 v90, v4, v90                                 // 000000005014: 0AB4B504
	v_mul_f32_e32 v91, v4, v91                                 // 000000005018: 0AB6B704
	v_mul_f32_e32 v92, v4, v92                                 // 00000000501C: 0AB8B904
	v_mul_f32_e32 v93, v4, v93                                 // 000000005020: 0ABABB04
	v_mul_f32_e32 v94, v4, v94                                 // 000000005024: 0ABCBD04
	v_mul_f32_e32 v95, v4, v95                                 // 000000005028: 0ABEBF04
	v_mul_f32_e32 v96, v4, v96                                 // 00000000502C: 0AC0C104
	v_mul_f32_e32 v97, v4, v97                                 // 000000005030: 0AC2C304
	v_mul_f32_e32 v98, v4, v98                                 // 000000005034: 0AC4C504
	v_mul_f32_e32 v99, v4, v99                                 // 000000005038: 0AC6C704
	v_mul_f32_e32 v100, v4, v100                               // 00000000503C: 0AC8C904
	v_mul_f32_e32 v101, v4, v101                               // 000000005040: 0ACACB04
	v_mul_f32_e32 v102, v4, v102                               // 000000005044: 0ACCCD04
	v_mul_f32_e32 v103, v4, v103                               // 000000005048: 0ACECF04
	v_mul_f32_e32 v104, v4, v104                               // 00000000504C: 0AD0D104
	v_mul_f32_e32 v105, v4, v105                               // 000000005050: 0AD2D304
	s_cmp_lt_i32 s91, 0                                        // 000000005054: BF04805B
	s_cbranch_scc1 label_2F70                                  // 000000005058: BF8500A3
	s_mul_i32 s79, 0x800, 16                                   // 00000000505C: 924F90FF 00000800
	s_mul_i32 s60, s91, s79                                    // 000000005064: 923C4F5B
	s_add_u32 s8, s60, s8                                      // 000000005068: 8008083C
	s_addc_u32 s9, 0, s9                                       // 00000000506C: 82090980
	s_mul_i32 s60, s79, s85                                    // 000000005070: 923C554F
	s_mov_b32 s10, s60                                         // 000000005074: BE8A003C
	s_mul_i32 s60, 0x200, s7                                   // 000000005078: 923C07FF 00000200
	v_lshrrev_b32_e32 v28, 5, v0                               // 000000005080: 20380085
	s_mov_b32 s61, 0x800                                       // 000000005084: BEBD00FF 00000800
	v_mul_i32_i24_e32 v28, s61, v28                            // 00000000508C: 0C38383D
	v_and_b32_e32 v5, 31, v0                                   // 000000005090: 260A009F
	v_lshlrev_b32_e32 v5, 4, v5                                // 000000005094: 240A0A84
	v_add_u32_e32 v5, v5, v28                                  // 000000005098: 680A3905
	v_add_u32_e64 v5, v5, s60                                  // 00000000509C: D1340005 00007905
	s_mul_i32 s61, 4, 16                                       // 0000000050A4: 923D9084
	s_mul_i32 s60, s91, s61                                    // 0000000050A8: 923C3D5B
	s_add_u32 s12, s60, s12                                    // 0000000050AC: 800C0C3C
	s_addc_u32 s13, 0, s13                                     // 0000000050B0: 820D0D80
	s_mul_i32 s62, s61, s85                                    // 0000000050B4: 923E553D
	s_mov_b32 s14, s62                                         // 0000000050B8: BE8E003E
	v_and_b32_e32 v4, 15, v0                                   // 0000000050BC: 2608008F
	v_lshlrev_b32_e32 v4, 2, v4                                // 0000000050C0: 24080882
	s_mul_i32 s60, s61, s7                                     // 0000000050C4: 923C073D
	v_add_u32_e64 v4, v4, s60                                  // 0000000050C8: D1340004 00007904
	v_lshlrev_b32_e32 v2, 4, v0                                // 0000000050D0: 24040084
	s_mov_b32 s60, 0x2400                                      // 0000000050D4: BEBC00FF 00002400
	s_mul_i32 s60, s7, s60                                     // 0000000050DC: 923C3C07
	v_add_u32_e32 v2, s60, v2                                  // 0000000050E0: 6804043C
	ds_write_b128 v2, v[74:77]                                 // 0000000050E4: D9BE0000 00004A02
	s_mov_b32 s60, 0x410                                       // 0000000050EC: BEBC00FF 00000410
	v_add_u32_e32 v2, s60, v2                                  // 0000000050F4: 6804043C
	ds_write_b128 v2, v[78:81]                                 // 0000000050F8: D9BE0000 00004E02
	s_mov_b32 s60, 0x410                                       // 000000005100: BEBC00FF 00000410
	v_add_u32_e32 v2, s60, v2                                  // 000000005108: 6804043C
	ds_write_b128 v2, v[82:85]                                 // 00000000510C: D9BE0000 00005202
	s_mov_b32 s60, 0x410                                       // 000000005114: BEBC00FF 00000410
	v_add_u32_e32 v2, s60, v2                                  // 00000000511C: 6804043C
	ds_write_b128 v2, v[86:89]                                 // 000000005120: D9BE0000 00005602
	s_mov_b32 s60, 0x410                                       // 000000005128: BEBC00FF 00000410
	v_add_u32_e32 v2, s60, v2                                  // 000000005130: 6804043C
	ds_write_b128 v2, v[90:93]                                 // 000000005134: D9BE0000 00005A02
	s_mov_b32 s60, 0x410                                       // 00000000513C: BEBC00FF 00000410
	v_add_u32_e32 v2, s60, v2                                  // 000000005144: 6804043C
	ds_write_b128 v2, v[94:97]                                 // 000000005148: D9BE0000 00005E02
	s_mov_b32 s60, 0x410                                       // 000000005150: BEBC00FF 00000410
	v_add_u32_e32 v2, s60, v2                                  // 000000005158: 6804043C
	ds_write_b128 v2, v[98:101]                                // 00000000515C: D9BE0000 00006202
	s_mov_b32 s60, 0x410                                       // 000000005164: BEBC00FF 00000410
	v_add_u32_e32 v2, s60, v2                                  // 00000000516C: 6804043C
	ds_write_b128 v2, v[102:105]                               // 000000005170: D9BE0000 00006602
	s_mov_b32 s60, 0x410                                       // 000000005178: BEBC00FF 00000410
	v_add_u32_e32 v2, s60, v2                                  // 000000005180: 6804043C
	v_and_b32_e32 v28, 3, v0                                   // 000000005184: 26380083
	s_mov_b32 s60, 0x100                                       // 000000005188: BEBC00FF 00000100
	v_mul_i32_i24_e32 v28, s60, v28                            // 000000005190: 0C38383C
	v_and_b32_e32 v29, 31, v0                                  // 000000005194: 263A009F
	v_lshrrev_b32_e32 v29, 2, v29                              // 000000005198: 203A3A82
	s_mov_b32 s60, 0x410                                       // 00000000519C: BEBC00FF 00000410
	v_mul_i32_i24_e32 v29, s60, v29                            // 0000000051A4: 0C3A3A3C
	v_lshrrev_b32_e32 v30, 5, v0                               // 0000000051A8: 203C0085
	s_mov_b32 s60, 16                                          // 0000000051AC: BEBC0090
	v_mul_i32_i24_e32 v30, s60, v30                            // 0000000051B0: 0C3C3C3C
	v_add_u32_e32 v2, v28, v29                                 // 0000000051B4: 68043B1C
	v_add_u32_e32 v2, v30, v2                                  // 0000000051B8: 6804051E
	s_mov_b32 s61, 0x2400                                      // 0000000051BC: BEBD00FF 00002400
	s_mul_i32 s60, s61, s7                                     // 0000000051C4: 923C073D
	v_add_u32_e32 v2, s60, v2                                  // 0000000051C8: 6804043C
	v_and_b32_e32 v5, 31, v0                                   // 0000000051CC: 260A009F
	v_lshlrev_b32_e32 v5, 4, v5                                // 0000000051D0: 240A0A84
	v_lshrrev_b32_e32 v28, 5, v0                               // 0000000051D4: 20380085
	s_mov_b32 s60, 0x800                                       // 0000000051D8: BEBC00FF 00000800
	v_mul_i32_i24_e32 v28, s60, v28                            // 0000000051E0: 0C38383C
	v_add_u32_e32 v5, v28, v5                                  // 0000000051E4: 680A0B1C
	s_mov_b32 s61, 0x200                                       // 0000000051E8: BEBD00FF 00000200
	s_mul_i32 s60, s7, s61                                     // 0000000051F0: 923C3D07
	v_add_u32_e32 v5, s60, v5                                  // 0000000051F4: 680A0A3C
	s_waitcnt lgkmcnt(0)                                       // 0000000051F8: BF8CC07F
	ds_read_b128 v[74:77], v2                                  // 0000000051FC: D9FE0000 4A000002
	ds_read_b128 v[78:81], v2 offset:32                        // 000000005204: D9FE0020 4E000002
	s_waitcnt lgkmcnt(1)                                       // 00000000520C: BF8CC17F
	buffer_store_dwordx4 v[74:77], v5, s[8:11], 0 offen        // 000000005210: E07C1000 80024A05
	v_add_u32_e32 v5, 0x1000, v5                               // 000000005218: 680A0AFF 00001000
	ds_read_b128 v[82:85], v2 offset:64                        // 000000005220: D9FE0040 52000002
	s_waitcnt lgkmcnt(1)                                       // 000000005228: BF8CC17F
	buffer_store_dwordx4 v[78:81], v5, s[8:11], 0 offen        // 00000000522C: E07C1000 80024E05
	v_add_u32_e32 v5, 0x1000, v5                               // 000000005234: 680A0AFF 00001000
	ds_read_b128 v[86:89], v2 offset:96                        // 00000000523C: D9FE0060 56000002
	s_waitcnt lgkmcnt(1)                                       // 000000005244: BF8CC17F
	buffer_store_dwordx4 v[82:85], v5, s[8:11], 0 offen        // 000000005248: E07C1000 80025205
	v_add_u32_e32 v5, 0x1000, v5                               // 000000005250: 680A0AFF 00001000
	s_waitcnt lgkmcnt(0)                                       // 000000005258: BF8CC07F
	buffer_store_dwordx4 v[86:89], v5, s[8:11], 0 offen        // 00000000525C: E07C1000 80025605
	v_add_u32_e32 v5, 0x1000, v5                               // 000000005264: 680A0AFF 00001000
	ds_read_b128 v[90:93], v2 offset:128                       // 00000000526C: D9FE0080 5A000002
	ds_read_b128 v[94:97], v2 offset:160                       // 000000005274: D9FE00A0 5E000002
	s_waitcnt lgkmcnt(1)                                       // 00000000527C: BF8CC17F
	buffer_store_dwordx4 v[90:93], v5, s[8:11], 0 offen        // 000000005280: E07C1000 80025A05
	v_add_u32_e32 v5, 0x1000, v5                               // 000000005288: 680A0AFF 00001000
	ds_read_b128 v[98:101], v2 offset:192                      // 000000005290: D9FE00C0 62000002
	s_waitcnt lgkmcnt(1)                                       // 000000005298: BF8CC17F
	buffer_store_dwordx4 v[94:97], v5, s[8:11], 0 offen        // 00000000529C: E07C1000 80025E05
	v_add_u32_e32 v5, 0x1000, v5                               // 0000000052A4: 680A0AFF 00001000
	ds_read_b128 v[102:105], v2 offset:224                     // 0000000052AC: D9FE00E0 66000002
	s_waitcnt lgkmcnt(1)                                       // 0000000052B4: BF8CC17F
	buffer_store_dwordx4 v[98:101], v5, s[8:11], 0 offen       // 0000000052B8: E07C1000 80026205
	v_add_u32_e32 v5, 0x1000, v5                               // 0000000052C0: 680A0AFF 00001000
	s_waitcnt lgkmcnt(0)                                       // 0000000052C8: BF8CC07F
	buffer_store_dwordx4 v[102:105], v5, s[8:11], 0 offen      // 0000000052CC: E07C1000 80026605
	v_add_u32_e32 v5, 0x1000, v5                               // 0000000052D4: 680A0AFF 00001000
	buffer_store_dword v1, v4, s[12:15], 0 offen               // 0000000052DC: E0701000 80030104
	s_branch label_3534                                        // 0000000052E4: BF820171

00000000000052e8 <label_2F70>:
	s_mul_i32 s79, 0x400, 16                                   // 0000000052E8: 924F90FF 00000400
	s_mul_i32 s60, s82, s79                                    // 0000000052F0: 923C4F52
	s_add_u32 s92, s60, s92                                    // 0000000052F4: 805C5C3C
	s_addc_u32 s93, 0, s93                                     // 0000000052F8: 825D5D80
	s_mul_i32 s60, s79, s85                                    // 0000000052FC: 923C554F
	s_mov_b32 s94, s60                                         // 000000005300: BEDE003C
	s_mul_i32 s60, 0x100, s7                                   // 000000005304: 923C07FF 00000100
	v_lshrrev_b32_e32 v28, 5, v0                               // 00000000530C: 20380085
	s_mov_b32 s61, 0x400                                       // 000000005310: BEBD00FF 00000400
	v_mul_i32_i24_e32 v28, s61, v28                            // 000000005318: 0C38383D
	v_and_b32_e32 v5, 31, v0                                   // 00000000531C: 260A009F
	v_lshlrev_b32_e32 v5, 4, v5                                // 000000005320: 240A0A84
	v_add_u32_e32 v5, v5, v28                                  // 000000005324: 680A3905
	v_add_u32_e64 v5, v5, s60                                  // 000000005328: D1340005 00007905
	s_mul_i32 s61, 4, 16                                       // 000000005330: 923D9084
	s_mul_i32 s60, s71, s61                                    // 000000005334: 923C3D47
	s_mul_i32 s60, s82, s60                                    // 000000005338: 923C3C52
	s_add_u32 s96, s60, s96                                    // 00000000533C: 8060603C
	s_addc_u32 s97, 0, s97                                     // 000000005340: 82616180
	v_and_b32_e32 v4, 15, v0                                   // 000000005344: 2608008F
	v_lshlrev_b32_e32 v4, 2, v4                                // 000000005348: 24080882
	s_mul_i32 s60, s61, s7                                     // 00000000534C: 923C073D
	v_add_u32_e64 v4, v4, s60                                  // 000000005350: D1340004 00007904
	v_lshlrev_b32_e32 v2, 3, v0                                // 000000005358: 24040083
	s_mov_b32 s60, 0x1400                                      // 00000000535C: BEBC00FF 00001400
	s_mul_i32 s60, s7, s60                                     // 000000005364: 923C3C07
	v_add_u32_e32 v2, s60, v2                                  // 000000005368: 6804043C
	v_cmp_u_f32_e64 s[36:37], v74, v74                         // 00000000536C: D0480024 0002954A
	v_add3_u32 v70, v74, v73, 1                                // 000000005374: D1FF0046 0206934A
	v_cndmask_b32_e64 v28, v70, v72, s[36:37]                  // 00000000537C: D100001C 00929146
	v_cmp_u_f32_e64 s[36:37], v75, v75                         // 000000005384: D0480024 0002974B
	v_add3_u32 v70, v75, v73, 1                                // 00000000538C: D1FF0046 0206934B
	v_cndmask_b32_e64 v29, v70, v72, s[36:37]                  // 000000005394: D100001D 00929146
	v_perm_b32 v74, v29, v28, s52                              // 00000000539C: D1ED004A 00D2391D
	v_cmp_u_f32_e64 s[36:37], v76, v76                         // 0000000053A4: D0480024 0002994C
	v_add3_u32 v70, v76, v73, 1                                // 0000000053AC: D1FF0046 0206934C
	v_cndmask_b32_e64 v28, v70, v72, s[36:37]                  // 0000000053B4: D100001C 00929146
	v_cmp_u_f32_e64 s[36:37], v77, v77                         // 0000000053BC: D0480024 00029B4D
	v_add3_u32 v70, v77, v73, 1                                // 0000000053C4: D1FF0046 0206934D
	v_cndmask_b32_e64 v29, v70, v72, s[36:37]                  // 0000000053CC: D100001D 00929146
	v_perm_b32 v75, v29, v28, s52                              // 0000000053D4: D1ED004B 00D2391D
	v_cmp_u_f32_e64 s[36:37], v78, v78                         // 0000000053DC: D0480024 00029D4E
	v_add3_u32 v70, v78, v73, 1                                // 0000000053E4: D1FF0046 0206934E
	v_cndmask_b32_e64 v28, v70, v72, s[36:37]                  // 0000000053EC: D100001C 00929146
	v_cmp_u_f32_e64 s[36:37], v79, v79                         // 0000000053F4: D0480024 00029F4F
	v_add3_u32 v70, v79, v73, 1                                // 0000000053FC: D1FF0046 0206934F
	v_cndmask_b32_e64 v29, v70, v72, s[36:37]                  // 000000005404: D100001D 00929146
	v_perm_b32 v76, v29, v28, s52                              // 00000000540C: D1ED004C 00D2391D
	v_cmp_u_f32_e64 s[36:37], v80, v80                         // 000000005414: D0480024 0002A150
	v_add3_u32 v70, v80, v73, 1                                // 00000000541C: D1FF0046 02069350
	v_cndmask_b32_e64 v28, v70, v72, s[36:37]                  // 000000005424: D100001C 00929146
	v_cmp_u_f32_e64 s[36:37], v81, v81                         // 00000000542C: D0480024 0002A351
	v_add3_u32 v70, v81, v73, 1                                // 000000005434: D1FF0046 02069351
	v_cndmask_b32_e64 v29, v70, v72, s[36:37]                  // 00000000543C: D100001D 00929146
	v_perm_b32 v77, v29, v28, s52                              // 000000005444: D1ED004D 00D2391D
	v_cmp_u_f32_e64 s[36:37], v82, v82                         // 00000000544C: D0480024 0002A552
	v_add3_u32 v70, v82, v73, 1                                // 000000005454: D1FF0046 02069352
	v_cndmask_b32_e64 v28, v70, v72, s[36:37]                  // 00000000545C: D100001C 00929146
	v_cmp_u_f32_e64 s[36:37], v83, v83                         // 000000005464: D0480024 0002A753
	v_add3_u32 v70, v83, v73, 1                                // 00000000546C: D1FF0046 02069353
	v_cndmask_b32_e64 v29, v70, v72, s[36:37]                  // 000000005474: D100001D 00929146
	v_perm_b32 v78, v29, v28, s52                              // 00000000547C: D1ED004E 00D2391D
	v_cmp_u_f32_e64 s[36:37], v84, v84                         // 000000005484: D0480024 0002A954
	v_add3_u32 v70, v84, v73, 1                                // 00000000548C: D1FF0046 02069354
	v_cndmask_b32_e64 v28, v70, v72, s[36:37]                  // 000000005494: D100001C 00929146
	v_cmp_u_f32_e64 s[36:37], v85, v85                         // 00000000549C: D0480024 0002AB55
	v_add3_u32 v70, v85, v73, 1                                // 0000000054A4: D1FF0046 02069355
	v_cndmask_b32_e64 v29, v70, v72, s[36:37]                  // 0000000054AC: D100001D 00929146
	v_perm_b32 v79, v29, v28, s52                              // 0000000054B4: D1ED004F 00D2391D
	v_cmp_u_f32_e64 s[36:37], v86, v86                         // 0000000054BC: D0480024 0002AD56
	v_add3_u32 v70, v86, v73, 1                                // 0000000054C4: D1FF0046 02069356
	v_cndmask_b32_e64 v28, v70, v72, s[36:37]                  // 0000000054CC: D100001C 00929146
	v_cmp_u_f32_e64 s[36:37], v87, v87                         // 0000000054D4: D0480024 0002AF57
	v_add3_u32 v70, v87, v73, 1                                // 0000000054DC: D1FF0046 02069357
	v_cndmask_b32_e64 v29, v70, v72, s[36:37]                  // 0000000054E4: D100001D 00929146
	v_perm_b32 v80, v29, v28, s52                              // 0000000054EC: D1ED0050 00D2391D
	v_cmp_u_f32_e64 s[36:37], v88, v88                         // 0000000054F4: D0480024 0002B158
	v_add3_u32 v70, v88, v73, 1                                // 0000000054FC: D1FF0046 02069358
	v_cndmask_b32_e64 v28, v70, v72, s[36:37]                  // 000000005504: D100001C 00929146
	v_cmp_u_f32_e64 s[36:37], v89, v89                         // 00000000550C: D0480024 0002B359
	v_add3_u32 v70, v89, v73, 1                                // 000000005514: D1FF0046 02069359
	v_cndmask_b32_e64 v29, v70, v72, s[36:37]                  // 00000000551C: D100001D 00929146
	v_perm_b32 v81, v29, v28, s52                              // 000000005524: D1ED0051 00D2391D
	v_cmp_u_f32_e64 s[36:37], v90, v90                         // 00000000552C: D0480024 0002B55A
	v_add3_u32 v70, v90, v73, 1                                // 000000005534: D1FF0046 0206935A
	v_cndmask_b32_e64 v28, v70, v72, s[36:37]                  // 00000000553C: D100001C 00929146
	v_cmp_u_f32_e64 s[36:37], v91, v91                         // 000000005544: D0480024 0002B75B
	v_add3_u32 v70, v91, v73, 1                                // 00000000554C: D1FF0046 0206935B
	v_cndmask_b32_e64 v29, v70, v72, s[36:37]                  // 000000005554: D100001D 00929146
	v_perm_b32 v82, v29, v28, s52                              // 00000000555C: D1ED0052 00D2391D
	v_cmp_u_f32_e64 s[36:37], v92, v92                         // 000000005564: D0480024 0002B95C
	v_add3_u32 v70, v92, v73, 1                                // 00000000556C: D1FF0046 0206935C
	v_cndmask_b32_e64 v28, v70, v72, s[36:37]                  // 000000005574: D100001C 00929146
	v_cmp_u_f32_e64 s[36:37], v93, v93                         // 00000000557C: D0480024 0002BB5D
	v_add3_u32 v70, v93, v73, 1                                // 000000005584: D1FF0046 0206935D
	v_cndmask_b32_e64 v29, v70, v72, s[36:37]                  // 00000000558C: D100001D 00929146
	v_perm_b32 v83, v29, v28, s52                              // 000000005594: D1ED0053 00D2391D
	v_cmp_u_f32_e64 s[36:37], v94, v94                         // 00000000559C: D0480024 0002BD5E
	v_add3_u32 v70, v94, v73, 1                                // 0000000055A4: D1FF0046 0206935E
	v_cndmask_b32_e64 v28, v70, v72, s[36:37]                  // 0000000055AC: D100001C 00929146
	v_cmp_u_f32_e64 s[36:37], v95, v95                         // 0000000055B4: D0480024 0002BF5F
	v_add3_u32 v70, v95, v73, 1                                // 0000000055BC: D1FF0046 0206935F
	v_cndmask_b32_e64 v29, v70, v72, s[36:37]                  // 0000000055C4: D100001D 00929146
	v_perm_b32 v84, v29, v28, s52                              // 0000000055CC: D1ED0054 00D2391D
	v_cmp_u_f32_e64 s[36:37], v96, v96                         // 0000000055D4: D0480024 0002C160
	v_add3_u32 v70, v96, v73, 1                                // 0000000055DC: D1FF0046 02069360
	v_cndmask_b32_e64 v28, v70, v72, s[36:37]                  // 0000000055E4: D100001C 00929146
	v_cmp_u_f32_e64 s[36:37], v97, v97                         // 0000000055EC: D0480024 0002C361
	v_add3_u32 v70, v97, v73, 1                                // 0000000055F4: D1FF0046 02069361
	v_cndmask_b32_e64 v29, v70, v72, s[36:37]                  // 0000000055FC: D100001D 00929146
	v_perm_b32 v85, v29, v28, s52                              // 000000005604: D1ED0055 00D2391D
	v_cmp_u_f32_e64 s[36:37], v98, v98                         // 00000000560C: D0480024 0002C562
	v_add3_u32 v70, v98, v73, 1                                // 000000005614: D1FF0046 02069362
	v_cndmask_b32_e64 v28, v70, v72, s[36:37]                  // 00000000561C: D100001C 00929146
	v_cmp_u_f32_e64 s[36:37], v99, v99                         // 000000005624: D0480024 0002C763
	v_add3_u32 v70, v99, v73, 1                                // 00000000562C: D1FF0046 02069363
	v_cndmask_b32_e64 v29, v70, v72, s[36:37]                  // 000000005634: D100001D 00929146
	v_perm_b32 v86, v29, v28, s52                              // 00000000563C: D1ED0056 00D2391D
	v_cmp_u_f32_e64 s[36:37], v100, v100                       // 000000005644: D0480024 0002C964
	v_add3_u32 v70, v100, v73, 1                               // 00000000564C: D1FF0046 02069364
	v_cndmask_b32_e64 v28, v70, v72, s[36:37]                  // 000000005654: D100001C 00929146
	v_cmp_u_f32_e64 s[36:37], v101, v101                       // 00000000565C: D0480024 0002CB65
	v_add3_u32 v70, v101, v73, 1                               // 000000005664: D1FF0046 02069365
	v_cndmask_b32_e64 v29, v70, v72, s[36:37]                  // 00000000566C: D100001D 00929146
	v_perm_b32 v87, v29, v28, s52                              // 000000005674: D1ED0057 00D2391D
	v_cmp_u_f32_e64 s[36:37], v102, v102                       // 00000000567C: D0480024 0002CD66
	v_add3_u32 v70, v102, v73, 1                               // 000000005684: D1FF0046 02069366
	v_cndmask_b32_e64 v28, v70, v72, s[36:37]                  // 00000000568C: D100001C 00929146
	v_cmp_u_f32_e64 s[36:37], v103, v103                       // 000000005694: D0480024 0002CF67
	v_add3_u32 v70, v103, v73, 1                               // 00000000569C: D1FF0046 02069367
	v_cndmask_b32_e64 v29, v70, v72, s[36:37]                  // 0000000056A4: D100001D 00929146
	v_perm_b32 v88, v29, v28, s52                              // 0000000056AC: D1ED0058 00D2391D
	v_cmp_u_f32_e64 s[36:37], v104, v104                       // 0000000056B4: D0480024 0002D168
	v_add3_u32 v70, v104, v73, 1                               // 0000000056BC: D1FF0046 02069368
	v_cndmask_b32_e64 v28, v70, v72, s[36:37]                  // 0000000056C4: D100001C 00929146
	v_cmp_u_f32_e64 s[36:37], v105, v105                       // 0000000056CC: D0480024 0002D369
	v_add3_u32 v70, v105, v73, 1                               // 0000000056D4: D1FF0046 02069369
	v_cndmask_b32_e64 v29, v70, v72, s[36:37]                  // 0000000056DC: D100001D 00929146
	v_perm_b32 v89, v29, v28, s52                              // 0000000056E4: D1ED0059 00D2391D
	ds_write_b64 v2, v[74:75]                                  // 0000000056EC: D89A0000 00004A02
	s_mov_b32 s60, 0x208                                       // 0000000056F4: BEBC00FF 00000208
	v_add_u32_e32 v2, s60, v2                                  // 0000000056FC: 6804043C
	ds_write_b64 v2, v[76:77]                                  // 000000005700: D89A0000 00004C02
	s_mov_b32 s60, 0x208                                       // 000000005708: BEBC00FF 00000208
	v_add_u32_e32 v2, s60, v2                                  // 000000005710: 6804043C
	ds_write_b64 v2, v[78:79]                                  // 000000005714: D89A0000 00004E02
	s_mov_b32 s60, 0x208                                       // 00000000571C: BEBC00FF 00000208
	v_add_u32_e32 v2, s60, v2                                  // 000000005724: 6804043C
	ds_write_b64 v2, v[80:81]                                  // 000000005728: D89A0000 00005002
	s_mov_b32 s60, 0x208                                       // 000000005730: BEBC00FF 00000208
	v_add_u32_e32 v2, s60, v2                                  // 000000005738: 6804043C
	ds_write_b64 v2, v[82:83]                                  // 00000000573C: D89A0000 00005202
	s_mov_b32 s60, 0x208                                       // 000000005744: BEBC00FF 00000208
	v_add_u32_e32 v2, s60, v2                                  // 00000000574C: 6804043C
	ds_write_b64 v2, v[84:85]                                  // 000000005750: D89A0000 00005402
	s_mov_b32 s60, 0x208                                       // 000000005758: BEBC00FF 00000208
	v_add_u32_e32 v2, s60, v2                                  // 000000005760: 6804043C
	ds_write_b64 v2, v[86:87]                                  // 000000005764: D89A0000 00005602
	s_mov_b32 s60, 0x208                                       // 00000000576C: BEBC00FF 00000208
	v_add_u32_e32 v2, s60, v2                                  // 000000005774: 6804043C
	ds_write_b64 v2, v[88:89]                                  // 000000005778: D89A0000 00005802
	s_mov_b32 s60, 0x208                                       // 000000005780: BEBC00FF 00000208
	v_add_u32_e32 v2, s60, v2                                  // 000000005788: 6804043C
	v_and_b32_e32 v28, 1, v0                                   // 00000000578C: 26380081
	s_mov_b32 s60, 0x100                                       // 000000005790: BEBC00FF 00000100
	v_mul_i32_i24_e32 v28, s60, v28                            // 000000005798: 0C38383C
	v_and_b32_e32 v29, 15, v0                                  // 00000000579C: 263A008F
	v_lshrrev_b32_e32 v29, 1, v29                              // 0000000057A0: 203A3A81
	s_mov_b32 s60, 0x208                                       // 0000000057A4: BEBC00FF 00000208
	v_mul_i32_i24_e32 v29, s60, v29                            // 0000000057AC: 0C3A3A3C
	v_lshrrev_b32_e32 v30, 4, v0                               // 0000000057B0: 203C0084
	s_mov_b32 s60, 8                                           // 0000000057B4: BEBC0088
	v_mul_i32_i24_e32 v30, s60, v30                            // 0000000057B8: 0C3C3C3C
	v_add_u32_e32 v2, v28, v29                                 // 0000000057BC: 68043B1C
	v_add_u32_e32 v2, v30, v2                                  // 0000000057C0: 6804051E
	s_mov_b32 s60, 0x80                                        // 0000000057C4: BEBC00FF 00000080
	v_add_u32_e32 v3, s60, v2                                  // 0000000057CC: 6806043C
	s_mov_b32 s61, 0x1400                                      // 0000000057D0: BEBD00FF 00001400
	s_mul_i32 s60, s61, s7                                     // 0000000057D8: 923C073D
	v_add_u32_e32 v2, s60, v2                                  // 0000000057DC: 6804043C
	v_add_u32_e32 v3, s60, v3                                  // 0000000057E0: 6806063C
	s_mov_b32 s60, 0x100                                       // 0000000057E4: BEBC00FF 00000100
	s_mul_i32 s60, s7, s60                                     // 0000000057EC: 923C3C07
	v_lshrrev_b32_e32 v28, 4, v0                               // 0000000057F0: 20380084
	s_mov_b32 s61, 0x400                                       // 0000000057F4: BEBD00FF 00000400
	v_mul_i32_i24_e32 v28, s61, v28                            // 0000000057FC: 0C38383D
	v_and_b32_e32 v5, 15, v0                                   // 000000005800: 260A008F
	v_lshlrev_b32_e32 v5, 4, v5                                // 000000005804: 240A0A84
	v_add_u32_e32 v5, s60, v5                                  // 000000005808: 680A0A3C
	v_add_u32_e32 v5, v28, v5                                  // 00000000580C: 680A0B1C
	s_waitcnt lgkmcnt(0)                                       // 000000005810: BF8CC07F
	ds_read_b64 v[74:75], v2                                   // 000000005814: D8EC0000 4A000002
	ds_read_b64 v[76:77], v3                                   // 00000000581C: D8EC0000 4C000003
	ds_read_b64 v[78:79], v2 offset:32                         // 000000005824: D8EC0020 4E000002
	ds_read_b64 v[80:81], v3 offset:32                         // 00000000582C: D8EC0020 50000003
	s_waitcnt lgkmcnt(2)                                       // 000000005834: BF8CC27F
	buffer_store_dwordx4 v[74:77], v5, s[92:95], 0 offen       // 000000005838: E07C1000 80174A05
	v_add_u32_e32 v5, 0x1000, v5                               // 000000005840: 680A0AFF 00001000
	ds_read_b64 v[82:83], v2 offset:64                         // 000000005848: D8EC0040 52000002
	ds_read_b64 v[84:85], v3 offset:64                         // 000000005850: D8EC0040 54000003
	s_waitcnt lgkmcnt(2)                                       // 000000005858: BF8CC27F
	buffer_store_dwordx4 v[78:81], v5, s[92:95], 0 offen       // 00000000585C: E07C1000 80174E05
	v_add_u32_e32 v5, 0x1000, v5                               // 000000005864: 680A0AFF 00001000
	ds_read_b64 v[86:87], v2 offset:96                         // 00000000586C: D8EC0060 56000002
	ds_read_b64 v[88:89], v3 offset:96                         // 000000005874: D8EC0060 58000003
	s_waitcnt lgkmcnt(2)                                       // 00000000587C: BF8CC27F
	buffer_store_dwordx4 v[82:85], v5, s[92:95], 0 offen       // 000000005880: E07C1000 80175205
	v_add_u32_e32 v5, 0x1000, v5                               // 000000005888: 680A0AFF 00001000
	s_waitcnt lgkmcnt(0)                                       // 000000005890: BF8CC07F
	buffer_store_dwordx4 v[86:89], v5, s[92:95], 0 offen       // 000000005894: E07C1000 80175605
	v_add_u32_e32 v5, 0x1000, v5                               // 00000000589C: 680A0AFF 00001000
	buffer_store_dword v1, v4, s[96:99], 0 offen               // 0000000058A4: E0701000 80180104

00000000000058ac <label_3534>:
	s_mov_b32 s60, 32                                          // 0000000058AC: BEBC00A0
	s_addk_i32 s89, 0x1                                        // 0000000058B0: B7590001
	s_cmp_lt_i32 s89, s90                                      // 0000000058B4: BF045A59
	s_cbranch_scc1 label_00A4                                  // 0000000058B8: BF85F2FA

00000000000058bc <label_3544>:
	s_waitcnt vmcnt(0) expcnt(0) lgkmcnt(0)                    // 0000000058BC: BF8C0000
	s_endpgm                                                   // 0000000058C0: BF810000
